;; amdgpu-corpus repo=ROCm/rocFFT kind=compiled arch=gfx1201 opt=O3
	.text
	.amdgcn_target "amdgcn-amd-amdhsa--gfx1201"
	.amdhsa_code_object_version 6
	.protected	fft_rtc_back_len924_factors_2_2_3_7_11_wgs_44_tpt_44_halfLds_dp_op_CI_CI_unitstride_sbrr_dirReg ; -- Begin function fft_rtc_back_len924_factors_2_2_3_7_11_wgs_44_tpt_44_halfLds_dp_op_CI_CI_unitstride_sbrr_dirReg
	.globl	fft_rtc_back_len924_factors_2_2_3_7_11_wgs_44_tpt_44_halfLds_dp_op_CI_CI_unitstride_sbrr_dirReg
	.p2align	8
	.type	fft_rtc_back_len924_factors_2_2_3_7_11_wgs_44_tpt_44_halfLds_dp_op_CI_CI_unitstride_sbrr_dirReg,@function
fft_rtc_back_len924_factors_2_2_3_7_11_wgs_44_tpt_44_halfLds_dp_op_CI_CI_unitstride_sbrr_dirReg: ; @fft_rtc_back_len924_factors_2_2_3_7_11_wgs_44_tpt_44_halfLds_dp_op_CI_CI_unitstride_sbrr_dirReg
; %bb.0:
	s_clause 0x2
	s_load_b128 s[4:7], s[0:1], 0x0
	s_load_b128 s[8:11], s[0:1], 0x58
	;; [unrolled: 1-line block ×3, first 2 shown]
	v_mul_u32_u24_e32 v1, 0x5d2, v0
	v_mov_b32_e32 v4, 0
	v_mov_b32_e32 v5, 0
	s_delay_alu instid0(VALU_DEP_3) | instskip(NEXT) | instid1(VALU_DEP_1)
	v_lshrrev_b32_e32 v2, 16, v1
	v_dual_mov_b32 v1, 0 :: v_dual_add_nc_u32 v6, ttmp9, v2
	s_delay_alu instid0(VALU_DEP_1) | instskip(SKIP_2) | instid1(VALU_DEP_1)
	v_mov_b32_e32 v7, v1
	s_wait_kmcnt 0x0
	v_cmp_lt_u64_e64 s2, s[6:7], 2
	s_and_b32 vcc_lo, exec_lo, s2
	s_cbranch_vccnz .LBB0_8
; %bb.1:
	s_load_b64 s[2:3], s[0:1], 0x10
	v_mov_b32_e32 v4, 0
	v_mov_b32_e32 v5, 0
	s_add_nc_u64 s[16:17], s[14:15], 8
	s_add_nc_u64 s[18:19], s[12:13], 8
	s_mov_b64 s[20:21], 1
	s_delay_alu instid0(VALU_DEP_1)
	v_dual_mov_b32 v133, v5 :: v_dual_mov_b32 v132, v4
	s_wait_kmcnt 0x0
	s_add_nc_u64 s[22:23], s[2:3], 8
	s_mov_b32 s3, 0
.LBB0_2:                                ; =>This Inner Loop Header: Depth=1
	s_load_b64 s[24:25], s[22:23], 0x0
                                        ; implicit-def: $vgpr134_vgpr135
	s_mov_b32 s2, exec_lo
	s_wait_kmcnt 0x0
	v_or_b32_e32 v2, s25, v7
	s_delay_alu instid0(VALU_DEP_1)
	v_cmpx_ne_u64_e32 0, v[1:2]
	s_wait_alu 0xfffe
	s_xor_b32 s26, exec_lo, s2
	s_cbranch_execz .LBB0_4
; %bb.3:                                ;   in Loop: Header=BB0_2 Depth=1
	s_cvt_f32_u32 s2, s24
	s_cvt_f32_u32 s27, s25
	s_sub_nc_u64 s[30:31], 0, s[24:25]
	s_wait_alu 0xfffe
	s_delay_alu instid0(SALU_CYCLE_1) | instskip(SKIP_1) | instid1(SALU_CYCLE_2)
	s_fmamk_f32 s2, s27, 0x4f800000, s2
	s_wait_alu 0xfffe
	v_s_rcp_f32 s2, s2
	s_delay_alu instid0(TRANS32_DEP_1) | instskip(SKIP_1) | instid1(SALU_CYCLE_2)
	s_mul_f32 s2, s2, 0x5f7ffffc
	s_wait_alu 0xfffe
	s_mul_f32 s27, s2, 0x2f800000
	s_wait_alu 0xfffe
	s_delay_alu instid0(SALU_CYCLE_2) | instskip(SKIP_1) | instid1(SALU_CYCLE_2)
	s_trunc_f32 s27, s27
	s_wait_alu 0xfffe
	s_fmamk_f32 s2, s27, 0xcf800000, s2
	s_cvt_u32_f32 s29, s27
	s_wait_alu 0xfffe
	s_delay_alu instid0(SALU_CYCLE_1) | instskip(SKIP_1) | instid1(SALU_CYCLE_2)
	s_cvt_u32_f32 s28, s2
	s_wait_alu 0xfffe
	s_mul_u64 s[34:35], s[30:31], s[28:29]
	s_wait_alu 0xfffe
	s_mul_hi_u32 s37, s28, s35
	s_mul_i32 s36, s28, s35
	s_mul_hi_u32 s2, s28, s34
	s_mul_i32 s33, s29, s34
	s_wait_alu 0xfffe
	s_add_nc_u64 s[36:37], s[2:3], s[36:37]
	s_mul_hi_u32 s27, s29, s34
	s_mul_hi_u32 s38, s29, s35
	s_add_co_u32 s2, s36, s33
	s_wait_alu 0xfffe
	s_add_co_ci_u32 s2, s37, s27
	s_mul_i32 s34, s29, s35
	s_add_co_ci_u32 s35, s38, 0
	s_wait_alu 0xfffe
	s_add_nc_u64 s[34:35], s[2:3], s[34:35]
	s_wait_alu 0xfffe
	v_add_co_u32 v2, s2, s28, s34
	s_delay_alu instid0(VALU_DEP_1) | instskip(SKIP_1) | instid1(VALU_DEP_1)
	s_cmp_lg_u32 s2, 0
	s_add_co_ci_u32 s29, s29, s35
	v_readfirstlane_b32 s28, v2
	s_wait_alu 0xfffe
	s_delay_alu instid0(VALU_DEP_1)
	s_mul_u64 s[30:31], s[30:31], s[28:29]
	s_wait_alu 0xfffe
	s_mul_hi_u32 s35, s28, s31
	s_mul_i32 s34, s28, s31
	s_mul_hi_u32 s2, s28, s30
	s_mul_i32 s33, s29, s30
	s_wait_alu 0xfffe
	s_add_nc_u64 s[34:35], s[2:3], s[34:35]
	s_mul_hi_u32 s27, s29, s30
	s_mul_hi_u32 s28, s29, s31
	s_wait_alu 0xfffe
	s_add_co_u32 s2, s34, s33
	s_add_co_ci_u32 s2, s35, s27
	s_mul_i32 s30, s29, s31
	s_add_co_ci_u32 s31, s28, 0
	s_wait_alu 0xfffe
	s_add_nc_u64 s[30:31], s[2:3], s[30:31]
	s_wait_alu 0xfffe
	v_add_co_u32 v8, s2, v2, s30
	s_delay_alu instid0(VALU_DEP_1) | instskip(SKIP_1) | instid1(VALU_DEP_1)
	s_cmp_lg_u32 s2, 0
	s_add_co_ci_u32 s2, s29, s31
	v_mul_hi_u32 v12, v6, v8
	s_wait_alu 0xfffe
	v_mad_co_u64_u32 v[2:3], null, v6, s2, 0
	v_mad_co_u64_u32 v[8:9], null, v7, v8, 0
	;; [unrolled: 1-line block ×3, first 2 shown]
	s_delay_alu instid0(VALU_DEP_3) | instskip(SKIP_1) | instid1(VALU_DEP_4)
	v_add_co_u32 v2, vcc_lo, v12, v2
	s_wait_alu 0xfffd
	v_add_co_ci_u32_e32 v3, vcc_lo, 0, v3, vcc_lo
	s_delay_alu instid0(VALU_DEP_2) | instskip(SKIP_1) | instid1(VALU_DEP_2)
	v_add_co_u32 v2, vcc_lo, v2, v8
	s_wait_alu 0xfffd
	v_add_co_ci_u32_e32 v2, vcc_lo, v3, v9, vcc_lo
	s_wait_alu 0xfffd
	v_add_co_ci_u32_e32 v3, vcc_lo, 0, v11, vcc_lo
	s_delay_alu instid0(VALU_DEP_2) | instskip(SKIP_1) | instid1(VALU_DEP_2)
	v_add_co_u32 v8, vcc_lo, v2, v10
	s_wait_alu 0xfffd
	v_add_co_ci_u32_e32 v9, vcc_lo, 0, v3, vcc_lo
	s_delay_alu instid0(VALU_DEP_2) | instskip(SKIP_1) | instid1(VALU_DEP_3)
	v_mul_lo_u32 v10, s25, v8
	v_mad_co_u64_u32 v[2:3], null, s24, v8, 0
	v_mul_lo_u32 v11, s24, v9
	s_delay_alu instid0(VALU_DEP_2) | instskip(NEXT) | instid1(VALU_DEP_2)
	v_sub_co_u32 v2, vcc_lo, v6, v2
	v_add3_u32 v3, v3, v11, v10
	s_delay_alu instid0(VALU_DEP_1) | instskip(SKIP_1) | instid1(VALU_DEP_1)
	v_sub_nc_u32_e32 v10, v7, v3
	s_wait_alu 0xfffd
	v_subrev_co_ci_u32_e64 v10, s2, s25, v10, vcc_lo
	v_add_co_u32 v11, s2, v8, 2
	s_wait_alu 0xf1ff
	v_add_co_ci_u32_e64 v12, s2, 0, v9, s2
	v_sub_co_u32 v13, s2, v2, s24
	v_sub_co_ci_u32_e32 v3, vcc_lo, v7, v3, vcc_lo
	s_wait_alu 0xf1ff
	v_subrev_co_ci_u32_e64 v10, s2, 0, v10, s2
	s_delay_alu instid0(VALU_DEP_3) | instskip(NEXT) | instid1(VALU_DEP_3)
	v_cmp_le_u32_e32 vcc_lo, s24, v13
	v_cmp_eq_u32_e64 s2, s25, v3
	s_wait_alu 0xfffd
	v_cndmask_b32_e64 v13, 0, -1, vcc_lo
	v_cmp_le_u32_e32 vcc_lo, s25, v10
	s_wait_alu 0xfffd
	v_cndmask_b32_e64 v14, 0, -1, vcc_lo
	v_cmp_le_u32_e32 vcc_lo, s24, v2
	;; [unrolled: 3-line block ×3, first 2 shown]
	s_wait_alu 0xfffd
	v_cndmask_b32_e64 v15, 0, -1, vcc_lo
	v_cmp_eq_u32_e32 vcc_lo, s25, v10
	s_wait_alu 0xf1ff
	s_delay_alu instid0(VALU_DEP_2)
	v_cndmask_b32_e64 v2, v15, v2, s2
	s_wait_alu 0xfffd
	v_cndmask_b32_e32 v10, v14, v13, vcc_lo
	v_add_co_u32 v13, vcc_lo, v8, 1
	s_wait_alu 0xfffd
	v_add_co_ci_u32_e32 v14, vcc_lo, 0, v9, vcc_lo
	s_delay_alu instid0(VALU_DEP_3) | instskip(SKIP_1) | instid1(VALU_DEP_2)
	v_cmp_ne_u32_e32 vcc_lo, 0, v10
	s_wait_alu 0xfffd
	v_dual_cndmask_b32 v3, v14, v12 :: v_dual_cndmask_b32 v10, v13, v11
	v_cmp_ne_u32_e32 vcc_lo, 0, v2
	s_wait_alu 0xfffd
	s_delay_alu instid0(VALU_DEP_2)
	v_dual_cndmask_b32 v135, v9, v3 :: v_dual_cndmask_b32 v134, v8, v10
.LBB0_4:                                ;   in Loop: Header=BB0_2 Depth=1
	s_wait_alu 0xfffe
	s_and_not1_saveexec_b32 s2, s26
	s_cbranch_execz .LBB0_6
; %bb.5:                                ;   in Loop: Header=BB0_2 Depth=1
	v_cvt_f32_u32_e32 v2, s24
	s_sub_co_i32 s26, 0, s24
	v_mov_b32_e32 v135, v1
	s_delay_alu instid0(VALU_DEP_2) | instskip(NEXT) | instid1(TRANS32_DEP_1)
	v_rcp_iflag_f32_e32 v2, v2
	v_mul_f32_e32 v2, 0x4f7ffffe, v2
	s_delay_alu instid0(VALU_DEP_1) | instskip(SKIP_1) | instid1(VALU_DEP_1)
	v_cvt_u32_f32_e32 v2, v2
	s_wait_alu 0xfffe
	v_mul_lo_u32 v3, s26, v2
	s_delay_alu instid0(VALU_DEP_1) | instskip(NEXT) | instid1(VALU_DEP_1)
	v_mul_hi_u32 v3, v2, v3
	v_add_nc_u32_e32 v2, v2, v3
	s_delay_alu instid0(VALU_DEP_1) | instskip(NEXT) | instid1(VALU_DEP_1)
	v_mul_hi_u32 v2, v6, v2
	v_mul_lo_u32 v3, v2, s24
	v_add_nc_u32_e32 v8, 1, v2
	s_delay_alu instid0(VALU_DEP_2) | instskip(NEXT) | instid1(VALU_DEP_1)
	v_sub_nc_u32_e32 v3, v6, v3
	v_subrev_nc_u32_e32 v9, s24, v3
	v_cmp_le_u32_e32 vcc_lo, s24, v3
	s_wait_alu 0xfffd
	s_delay_alu instid0(VALU_DEP_2) | instskip(NEXT) | instid1(VALU_DEP_1)
	v_dual_cndmask_b32 v3, v3, v9 :: v_dual_cndmask_b32 v2, v2, v8
	v_cmp_le_u32_e32 vcc_lo, s24, v3
	s_delay_alu instid0(VALU_DEP_2) | instskip(SKIP_1) | instid1(VALU_DEP_1)
	v_add_nc_u32_e32 v8, 1, v2
	s_wait_alu 0xfffd
	v_cndmask_b32_e32 v134, v2, v8, vcc_lo
.LBB0_6:                                ;   in Loop: Header=BB0_2 Depth=1
	s_wait_alu 0xfffe
	s_or_b32 exec_lo, exec_lo, s2
	v_mul_lo_u32 v8, v135, s24
	s_delay_alu instid0(VALU_DEP_2)
	v_mul_lo_u32 v9, v134, s25
	s_load_b64 s[26:27], s[18:19], 0x0
	v_mad_co_u64_u32 v[2:3], null, v134, s24, 0
	s_load_b64 s[24:25], s[16:17], 0x0
	s_add_nc_u64 s[20:21], s[20:21], 1
	s_add_nc_u64 s[16:17], s[16:17], 8
	s_wait_alu 0xfffe
	v_cmp_ge_u64_e64 s2, s[20:21], s[6:7]
	s_add_nc_u64 s[18:19], s[18:19], 8
	s_add_nc_u64 s[22:23], s[22:23], 8
	v_add3_u32 v3, v3, v9, v8
	v_sub_co_u32 v2, vcc_lo, v6, v2
	s_wait_alu 0xfffd
	s_delay_alu instid0(VALU_DEP_2) | instskip(SKIP_2) | instid1(VALU_DEP_1)
	v_sub_co_ci_u32_e32 v3, vcc_lo, v7, v3, vcc_lo
	s_and_b32 vcc_lo, exec_lo, s2
	s_wait_kmcnt 0x0
	v_mul_lo_u32 v6, s26, v3
	v_mul_lo_u32 v7, s27, v2
	v_mad_co_u64_u32 v[4:5], null, s26, v2, v[4:5]
	v_mul_lo_u32 v3, s24, v3
	v_mul_lo_u32 v8, s25, v2
	v_mad_co_u64_u32 v[132:133], null, s24, v2, v[132:133]
	s_delay_alu instid0(VALU_DEP_4) | instskip(NEXT) | instid1(VALU_DEP_2)
	v_add3_u32 v5, v7, v5, v6
	v_add3_u32 v133, v8, v133, v3
	s_wait_alu 0xfffe
	s_cbranch_vccnz .LBB0_9
; %bb.7:                                ;   in Loop: Header=BB0_2 Depth=1
	v_dual_mov_b32 v6, v134 :: v_dual_mov_b32 v7, v135
	s_branch .LBB0_2
.LBB0_8:
	v_dual_mov_b32 v133, v5 :: v_dual_mov_b32 v132, v4
	v_dual_mov_b32 v135, v7 :: v_dual_mov_b32 v134, v6
.LBB0_9:
	s_load_b64 s[0:1], s[0:1], 0x28
	v_mul_hi_u32 v1, 0x5d1745e, v0
	s_lshl_b64 s[6:7], s[6:7], 3
                                        ; implicit-def: $vgpr136
	s_wait_alu 0xfffe
	s_add_nc_u64 s[2:3], s[14:15], s[6:7]
	s_wait_kmcnt 0x0
	v_cmp_gt_u64_e32 vcc_lo, s[0:1], v[134:135]
	v_cmp_le_u64_e64 s0, s[0:1], v[134:135]
	s_delay_alu instid0(VALU_DEP_1)
	s_and_saveexec_b32 s1, s0
	s_wait_alu 0xfffe
	s_xor_b32 s0, exec_lo, s1
; %bb.10:
	v_mul_u32_u24_e32 v1, 44, v1
                                        ; implicit-def: $vgpr4_vgpr5
	s_delay_alu instid0(VALU_DEP_1)
	v_sub_nc_u32_e32 v136, v0, v1
                                        ; implicit-def: $vgpr1
                                        ; implicit-def: $vgpr0
; %bb.11:
	s_wait_alu 0xfffe
	s_or_saveexec_b32 s1, s0
	s_load_b64 s[2:3], s[2:3], 0x0
                                        ; implicit-def: $vgpr86_vgpr87
                                        ; implicit-def: $vgpr58_vgpr59
                                        ; implicit-def: $vgpr78_vgpr79
                                        ; implicit-def: $vgpr38_vgpr39
                                        ; implicit-def: $vgpr82_vgpr83
                                        ; implicit-def: $vgpr34_vgpr35
                                        ; implicit-def: $vgpr70_vgpr71
                                        ; implicit-def: $vgpr30_vgpr31
                                        ; implicit-def: $vgpr74_vgpr75
                                        ; implicit-def: $vgpr26_vgpr27
                                        ; implicit-def: $vgpr62_vgpr63
                                        ; implicit-def: $vgpr22_vgpr23
                                        ; implicit-def: $vgpr66_vgpr67
                                        ; implicit-def: $vgpr18_vgpr19
                                        ; implicit-def: $vgpr50_vgpr51
                                        ; implicit-def: $vgpr14_vgpr15
                                        ; implicit-def: $vgpr54_vgpr55
                                        ; implicit-def: $vgpr10_vgpr11
                                        ; implicit-def: $vgpr42_vgpr43
                                        ; implicit-def: $vgpr6_vgpr7
                                        ; implicit-def: $vgpr46_vgpr47
                                        ; implicit-def: $vgpr2_vgpr3
	s_xor_b32 exec_lo, exec_lo, s1
	s_cbranch_execz .LBB0_15
; %bb.12:
	s_add_nc_u64 s[6:7], s[12:13], s[6:7]
                                        ; implicit-def: $vgpr56_vgpr57
                                        ; implicit-def: $vgpr84_vgpr85
	s_load_b64 s[6:7], s[6:7], 0x0
	s_wait_kmcnt 0x0
	v_mul_lo_u32 v6, s7, v134
	v_mul_lo_u32 v7, s6, v135
	v_mad_co_u64_u32 v[2:3], null, s6, v134, 0
	s_mov_b32 s6, exec_lo
	s_delay_alu instid0(VALU_DEP_1) | instskip(SKIP_1) | instid1(VALU_DEP_2)
	v_add3_u32 v3, v3, v7, v6
	v_mul_u32_u24_e32 v6, 44, v1
	v_lshlrev_b64_e32 v[1:2], 4, v[2:3]
	v_lshlrev_b64_e32 v[3:4], 4, v[4:5]
	s_delay_alu instid0(VALU_DEP_3) | instskip(NEXT) | instid1(VALU_DEP_3)
	v_sub_nc_u32_e32 v136, v0, v6
	v_add_co_u32 v0, s0, s8, v1
	s_wait_alu 0xf1ff
	s_delay_alu instid0(VALU_DEP_4) | instskip(NEXT) | instid1(VALU_DEP_3)
	v_add_co_ci_u32_e64 v1, s0, s9, v2, s0
	v_lshlrev_b32_e32 v2, 4, v136
	s_delay_alu instid0(VALU_DEP_3) | instskip(SKIP_1) | instid1(VALU_DEP_3)
	v_add_co_u32 v0, s0, v0, v3
	s_wait_alu 0xf1ff
	v_add_co_ci_u32_e64 v1, s0, v1, v4, s0
	s_delay_alu instid0(VALU_DEP_2) | instskip(SKIP_1) | instid1(VALU_DEP_2)
	v_add_co_u32 v86, s0, v0, v2
	s_wait_alu 0xf1ff
	v_add_co_ci_u32_e64 v87, s0, 0, v1, s0
	s_clause 0x13
	global_load_b128 v[0:3], v[86:87], off
	global_load_b128 v[4:7], v[86:87], off offset:704
	global_load_b128 v[44:47], v[86:87], off offset:7392
	;; [unrolled: 1-line block ×19, first 2 shown]
	v_cmpx_gt_u32_e32 22, v136
; %bb.13:
	s_clause 0x1
	global_load_b128 v[56:59], v[86:87], off offset:7040
	global_load_b128 v[84:87], v[86:87], off offset:14432
; %bb.14:
	s_wait_alu 0xfffe
	s_or_b32 exec_lo, exec_lo, s6
.LBB0_15:
	s_delay_alu instid0(SALU_CYCLE_1)
	s_or_b32 exec_lo, exec_lo, s1
	s_wait_loadcnt 0x11
	v_add_f64_e64 v[94:95], v[0:1], -v[44:45]
	s_wait_loadcnt 0x0
	v_add_f64_e64 v[90:91], v[56:57], -v[84:85]
	v_add_f64_e64 v[98:99], v[4:5], -v[40:41]
	;; [unrolled: 1-line block ×10, first 2 shown]
	v_add_nc_u32_e32 v137, 44, v136
	v_add_nc_u32_e32 v139, 0x58, v136
	v_add_nc_u32_e32 v143, 0x84, v136
	v_add_nc_u32_e32 v142, 0xb0, v136
	v_add_nc_u32_e32 v141, 0xdc, v136
	v_add_nc_u32_e32 v140, 0x108, v136
	v_add_nc_u32_e32 v48, 0x160, v136
	v_add_nc_u32_e32 v49, 0x18c, v136
	v_cmp_gt_u32_e64 s0, 22, v136
	v_fma_f64 v[92:93], v[0:1], 2.0, -v[94:95]
	v_fma_f64 v[88:89], v[56:57], 2.0, -v[90:91]
	;; [unrolled: 1-line block ×11, first 2 shown]
	v_add_nc_u32_e32 v17, 0x134, v136
	v_add_nc_u32_e32 v16, 0x1b8, v136
	v_lshl_add_u32 v24, v136, 4, 0
	v_lshl_add_u32 v28, v137, 4, 0
	;; [unrolled: 1-line block ×11, first 2 shown]
	ds_store_b128 v24, v[92:95]
	ds_store_b128 v28, v[96:99]
	;; [unrolled: 1-line block ×10, first 2 shown]
	s_and_saveexec_b32 s1, s0
	s_cbranch_execz .LBB0_17
; %bb.16:
	ds_store_b128 v0, v[88:91]
.LBB0_17:
	s_wait_alu 0xfffe
	s_or_b32 exec_lo, exec_lo, s1
	v_lshl_add_u32 v138, v136, 3, 0
	global_wb scope:SCOPE_SE
	s_wait_dscnt 0x0
	s_wait_kmcnt 0x0
	s_barrier_signal -1
	s_barrier_wait -1
	global_inv scope:SCOPE_SE
	v_add_nc_u32_e32 v21, 0x1000, v138
	v_add_nc_u32_e32 v20, 0x800, v138
	;; [unrolled: 1-line block ×4, first 2 shown]
	ds_load_2addr_b64 v[116:119], v138 offset1:44
	ds_load_2addr_b64 v[112:115], v138 offset0:88 offset1:132
	ds_load_2addr_b64 v[100:103], v20 offset0:206 offset1:250
	;; [unrolled: 1-line block ×9, first 2 shown]
	s_and_saveexec_b32 s1, s0
	s_cbranch_execz .LBB0_19
; %bb.18:
	ds_load_b64 v[88:89], v138 offset:3520
	ds_load_b64 v[90:91], v138 offset:7216
.LBB0_19:
	s_wait_alu 0xfffe
	s_or_b32 exec_lo, exec_lo, s1
	v_add_f64_e64 v[44:45], v[2:3], -v[46:47]
	v_add_f64_e64 v[68:69], v[18:19], -v[66:67]
	;; [unrolled: 1-line block ×11, first 2 shown]
	global_wb scope:SCOPE_SE
	s_wait_dscnt 0x0
	s_barrier_signal -1
	s_barrier_wait -1
	global_inv scope:SCOPE_SE
	v_fma_f64 v[42:43], v[2:3], 2.0, -v[44:45]
	v_fma_f64 v[66:67], v[18:19], 2.0, -v[68:69]
	;; [unrolled: 1-line block ×11, first 2 shown]
	ds_store_b128 v24, v[42:45]
	ds_store_b128 v28, v[50:53]
	;; [unrolled: 1-line block ×10, first 2 shown]
	s_and_saveexec_b32 s1, s0
	s_cbranch_execz .LBB0_21
; %bb.20:
	ds_store_b128 v0, v[18:21]
.LBB0_21:
	s_wait_alu 0xfffe
	s_or_b32 exec_lo, exec_lo, s1
	v_add_nc_u32_e32 v12, 0x1000, v138
	v_add_nc_u32_e32 v22, 0x800, v138
	;; [unrolled: 1-line block ×4, first 2 shown]
	global_wb scope:SCOPE_SE
	s_wait_dscnt 0x0
	s_barrier_signal -1
	s_barrier_wait -1
	global_inv scope:SCOPE_SE
	ds_load_2addr_b64 v[0:3], v138 offset1:44
	ds_load_2addr_b64 v[26:29], v22 offset0:206 offset1:250
	ds_load_2addr_b64 v[4:7], v138 offset0:88 offset1:132
	;; [unrolled: 1-line block ×9, first 2 shown]
	v_lshlrev_b32_e32 v50, 1, v136
	v_lshlrev_b32_e32 v51, 1, v137
	;; [unrolled: 1-line block ×10, first 2 shown]
	s_and_saveexec_b32 s1, s0
	s_cbranch_execz .LBB0_23
; %bb.22:
	ds_load_b64 v[18:19], v138 offset:3520
	ds_load_b64 v[20:21], v138 offset:7216
.LBB0_23:
	s_wait_alu 0xfffe
	s_or_b32 exec_lo, exec_lo, s1
	v_and_b32_e32 v17, 1, v136
	v_lshlrev_b32_e32 v16, 1, v16
	s_delay_alu instid0(VALU_DEP_2)
	v_lshlrev_b32_e32 v46, 4, v17
	v_and_or_b32 v50, 0x7c, v50, v17
	v_and_or_b32 v51, 0xfc, v51, v17
	v_and_or_b32 v52, 0x1fc, v52, v17
	v_and_or_b32 v53, 0x1fc, v53, v17
	global_load_b128 v[46:49], v46, s[4:5]
	v_and_or_b32 v54, 0x1fc, v54, v17
	v_and_or_b32 v55, 0x3fc, v55, v17
	;; [unrolled: 1-line block ×6, first 2 shown]
	v_lshl_add_u32 v50, v50, 3, 0
	v_lshl_add_u32 v51, v51, 3, 0
	;; [unrolled: 1-line block ×10, first 2 shown]
	global_wb scope:SCOPE_SE
	s_wait_loadcnt_dscnt 0x0
	s_barrier_signal -1
	s_barrier_wait -1
	global_inv scope:SCOPE_SE
	v_mul_f64_e32 v[60:61], v[26:27], v[48:49]
	v_mul_f64_e32 v[64:65], v[30:31], v[48:49]
	;; [unrolled: 1-line block ×11, first 2 shown]
	v_fma_f64 v[60:61], v[100:101], v[46:47], v[60:61]
	v_fma_f64 v[64:65], v[92:93], v[46:47], v[64:65]
	;; [unrolled: 1-line block ×11, first 2 shown]
	v_add_f64_e64 v[60:61], v[116:117], -v[60:61]
	v_add_f64_e64 v[64:65], v[112:113], -v[64:65]
	;; [unrolled: 1-line block ×10, first 2 shown]
	v_fma_f64 v[82:83], v[116:117], 2.0, -v[60:61]
	v_fma_f64 v[86:87], v[112:113], 2.0, -v[64:65]
	v_add_f64_e64 v[112:113], v[88:89], -v[80:81]
	v_fma_f64 v[84:85], v[118:119], 2.0, -v[62:63]
	v_fma_f64 v[114:115], v[114:115], 2.0, -v[66:67]
	;; [unrolled: 1-line block ×8, first 2 shown]
	ds_store_2addr_b64 v50, v[82:83], v[60:61] offset1:2
	ds_store_2addr_b64 v51, v[84:85], v[62:63] offset1:2
	;; [unrolled: 1-line block ×10, first 2 shown]
	s_and_saveexec_b32 s1, s0
	s_cbranch_execz .LBB0_25
; %bb.24:
	v_fma_f64 v[60:61], v[88:89], 2.0, -v[112:113]
	v_and_or_b32 v62, 0x3fc, v16, v17
	s_delay_alu instid0(VALU_DEP_1)
	v_lshl_add_u32 v62, v62, 3, 0
	ds_store_2addr_b64 v62, v[60:61], v[112:113] offset1:2
.LBB0_25:
	s_wait_alu 0xfffe
	s_or_b32 exec_lo, exec_lo, s1
	v_mul_f64_e32 v[60:61], v[100:101], v[48:49]
	v_mul_f64_e32 v[62:63], v[102:103], v[48:49]
	;; [unrolled: 1-line block ×11, first 2 shown]
	v_add_nc_u32_e32 v124, 0x800, v138
	v_add_nc_u32_e32 v125, 0x1000, v138
	global_wb scope:SCOPE_SE
	s_wait_dscnt 0x0
	s_barrier_signal -1
	s_barrier_wait -1
	global_inv scope:SCOPE_SE
	v_add_nc_u32_e32 v94, 0x1800, v138
	v_fma_f64 v[26:27], v[26:27], v[46:47], -v[60:61]
	v_fma_f64 v[28:29], v[28:29], v[46:47], -v[62:63]
	;; [unrolled: 1-line block ×11, first 2 shown]
	v_add_f64_e64 v[60:61], v[0:1], -v[26:27]
	v_add_f64_e64 v[62:63], v[2:3], -v[28:29]
	;; [unrolled: 1-line block ×11, first 2 shown]
	v_fma_f64 v[46:47], v[0:1], 2.0, -v[60:61]
	v_fma_f64 v[48:49], v[2:3], 2.0, -v[62:63]
	;; [unrolled: 1-line block ×10, first 2 shown]
	ds_load_2addr_b64 v[0:3], v138 offset1:44
	ds_load_2addr_b64 v[8:11], v138 offset0:88 offset1:132
	ds_load_2addr_b64 v[4:7], v138 offset0:176 offset1:220
	ds_load_b64 v[90:91], v138 offset:7040
	ds_load_2addr_b64 v[12:15], v124 offset0:8 offset1:52
	ds_load_2addr_b64 v[40:43], v125 offset0:104 offset1:148
	;; [unrolled: 1-line block ×7, first 2 shown]
	global_wb scope:SCOPE_SE
	s_wait_dscnt 0x0
	s_barrier_signal -1
	s_barrier_wait -1
	global_inv scope:SCOPE_SE
	ds_store_2addr_b64 v50, v[46:47], v[60:61] offset1:2
	ds_store_2addr_b64 v51, v[48:49], v[62:63] offset1:2
	;; [unrolled: 1-line block ×10, first 2 shown]
	s_and_saveexec_b32 s1, s0
	s_cbranch_execz .LBB0_27
; %bb.26:
	v_fma_f64 v[18:19], v[18:19], 2.0, -v[88:89]
	v_and_or_b32 v16, 0x3fc, v16, v17
	s_delay_alu instid0(VALU_DEP_1)
	v_lshl_add_u32 v16, v16, 3, 0
	ds_store_2addr_b64 v16, v[18:19], v[88:89] offset1:2
.LBB0_27:
	s_wait_alu 0xfffe
	s_or_b32 exec_lo, exec_lo, s1
	v_and_b32_e32 v95, 3, v136
	global_wb scope:SCOPE_SE
	s_wait_dscnt 0x0
	s_barrier_signal -1
	s_barrier_wait -1
	global_inv scope:SCOPE_SE
	v_lshlrev_b32_e32 v16, 5, v95
	v_lshrrev_b32_e32 v96, 2, v136
	v_lshrrev_b32_e32 v97, 2, v137
	;; [unrolled: 1-line block ×4, first 2 shown]
	s_clause 0x1
	global_load_b128 v[44:47], v16, s[4:5] offset:48
	global_load_b128 v[52:55], v16, s[4:5] offset:32
	ds_load_2addr_b64 v[76:79], v125 offset0:104 offset1:148
	ds_load_2addr_b64 v[72:75], v124 offset0:96 offset1:140
	;; [unrolled: 1-line block ×7, first 2 shown]
	ds_load_b64 v[92:93], v138 offset:7040
	ds_load_2addr_b64 v[60:63], v138 offset1:44
	ds_load_2addr_b64 v[56:59], v138 offset0:88 offset1:132
	ds_load_2addr_b64 v[48:51], v138 offset0:176 offset1:220
	v_lshrrev_b32_e32 v100, 2, v142
	v_lshrrev_b32_e32 v101, 2, v141
	;; [unrolled: 1-line block ×3, first 2 shown]
	v_and_b32_e32 v103, 0xff, v136
	v_and_b32_e32 v128, 0xff, v137
	;; [unrolled: 1-line block ×3, first 2 shown]
	v_mul_u32_u24_e32 v144, 12, v96
	v_mul_u32_u24_e32 v145, 12, v97
	;; [unrolled: 1-line block ×7, first 2 shown]
	v_mul_lo_u16 v165, 0xab, v103
	v_mul_lo_u16 v166, 0xab, v128
	;; [unrolled: 1-line block ×3, first 2 shown]
	v_or_b32_e32 v168, v144, v95
	v_or_b32_e32 v169, v145, v95
	;; [unrolled: 1-line block ×4, first 2 shown]
	s_mov_b32 s0, 0xe8584caa
	s_mov_b32 s1, 0xbfebb67a
	;; [unrolled: 1-line block ×3, first 2 shown]
	s_wait_alu 0xfffe
	s_mov_b32 s6, s0
	global_wb scope:SCOPE_SE
	s_wait_loadcnt_dscnt 0x0
	s_barrier_signal -1
	s_barrier_wait -1
	global_inv scope:SCOPE_SE
	s_mov_b32 s12, 0x37e14327
	s_mov_b32 s14, 0xe976ee23
	;; [unrolled: 1-line block ×12, first 2 shown]
	s_wait_alu 0xfffe
	s_mov_b32 s22, s24
	s_mov_b32 s17, 0x3fe77f67
	s_mov_b32 s19, 0xbfe77f67
	s_mov_b32 s18, s16
	s_mov_b32 s26, 0x37c3f68c
	s_mov_b32 s27, 0xbfdc38aa
	v_mul_f64_e32 v[96:97], v[76:77], v[46:47]
	v_mul_f64_e32 v[98:99], v[18:19], v[54:55]
	;; [unrolled: 1-line block ×28, first 2 shown]
	v_fma_f64 v[96:97], v[40:41], v[44:45], v[96:97]
	v_fma_f64 v[14:15], v[14:15], v[52:53], v[98:99]
	;; [unrolled: 1-line block ×6, first 2 shown]
	v_fma_f64 v[76:77], v[76:77], v[44:45], -v[128:129]
	v_fma_f64 v[18:19], v[18:19], v[52:53], -v[140:141]
	v_fma_f64 v[34:35], v[34:35], v[44:45], v[108:109]
	v_fma_f64 v[28:29], v[28:29], v[52:53], v[110:111]
	v_fma_f64 v[78:79], v[78:79], v[44:45], -v[130:131]
	v_fma_f64 v[72:73], v[72:73], v[52:53], -v[142:143]
	;; [unrolled: 1-line block ×6, first 2 shown]
	v_fma_f64 v[30:31], v[30:31], v[52:53], v[114:115]
	v_fma_f64 v[100:101], v[24:25], v[44:45], v[116:117]
	;; [unrolled: 1-line block ×6, first 2 shown]
	v_fma_f64 v[70:71], v[70:71], v[52:53], -v[152:153]
	v_fma_f64 v[80:81], v[80:81], v[44:45], -v[154:155]
	;; [unrolled: 1-line block ×6, first 2 shown]
	v_or_b32_e32 v41, v162, v95
	v_lshrrev_b16 v40, 11, v165
	v_lshrrev_b16 v25, 11, v166
	;; [unrolled: 1-line block ×3, first 2 shown]
	v_or_b32_e32 v43, v163, v95
	v_lshl_add_u32 v154, v41, 3, 0
	v_mul_lo_u16 v42, v40, 12
	v_mul_lo_u16 v41, v25, 12
	;; [unrolled: 1-line block ×3, first 2 shown]
	v_lshl_add_u32 v155, v43, 3, 0
	v_or_b32_e32 v95, v164, v95
	v_sub_nc_u16 v42, v136, v42
	v_sub_nc_u16 v108, v137, v41
	;; [unrolled: 1-line block ×3, first 2 shown]
	v_add_f64_e32 v[46:47], v[14:15], v[96:97]
	v_add_f64_e32 v[54:55], v[36:37], v[98:99]
	;; [unrolled: 1-line block ×3, first 2 shown]
	v_and_b32_e32 v41, 0xff, v42
	v_and_b32_e32 v42, 0xff, v108
	;; [unrolled: 1-line block ×3, first 2 shown]
	v_add_f64_e32 v[108:109], v[18:19], v[76:77]
	v_add_f64_e32 v[92:93], v[28:29], v[34:35]
	;; [unrolled: 1-line block ×12, first 2 shown]
	v_add_f64_e64 v[18:19], v[18:19], -v[76:77]
	v_add_f64_e32 v[141:142], v[70:71], v[80:81]
	v_add_f64_e64 v[14:15], v[14:15], -v[96:97]
	v_add_f64_e32 v[145:146], v[84:85], v[82:83]
	v_add_f64_e32 v[120:121], v[62:63], v[72:73]
	v_add_f64_e32 v[147:148], v[52:53], v[44:45]
	v_add_f64_e32 v[128:129], v[10:11], v[28:29]
	v_add_f64_e64 v[72:73], v[72:73], -v[78:79]
	v_add_f64_e64 v[36:37], v[36:37], -v[98:99]
	;; [unrolled: 1-line block ×4, first 2 shown]
	v_add_f64_e32 v[139:140], v[4:5], v[30:31]
	v_add_f64_e32 v[143:144], v[6:7], v[20:21]
	;; [unrolled: 1-line block ×3, first 2 shown]
	v_add_f64_e64 v[30:31], v[30:31], -v[100:101]
	v_add_f64_e64 v[20:21], v[20:21], -v[26:27]
	;; [unrolled: 1-line block ×3, first 2 shown]
	v_lshl_add_u32 v156, v95, 3, 0
	v_mul_u32_u24_e32 v157, 6, v41
	v_lshl_add_u32 v162, v168, 3, 0
	v_fma_f64 v[0:1], v[46:47], -0.5, v[0:1]
	v_fma_f64 v[2:3], v[54:55], -0.5, v[2:3]
	v_add_f64_e64 v[54:55], v[68:69], -v[66:67]
	v_fma_f64 v[8:9], v[86:87], -0.5, v[8:9]
	v_add_f64_e64 v[86:87], v[70:71], -v[80:81]
	v_add_f64_e32 v[68:69], v[58:59], v[68:69]
	v_add_f64_e32 v[70:71], v[48:49], v[70:71]
	v_fma_f64 v[60:61], v[108:109], -0.5, v[60:61]
	v_fma_f64 v[10:11], v[92:93], -0.5, v[10:11]
	v_add_f64_e64 v[92:93], v[84:85], -v[82:83]
	v_add_f64_e32 v[84:85], v[50:51], v[84:85]
	v_fma_f64 v[62:63], v[110:111], -0.5, v[62:63]
	v_add_f64_e64 v[46:47], v[74:75], -v[64:65]
	v_add_f64_e32 v[74:75], v[56:57], v[74:75]
	v_fma_f64 v[56:57], v[126:127], -0.5, v[56:57]
	v_fma_f64 v[58:59], v[130:131], -0.5, v[58:59]
	;; [unrolled: 1-line block ×4, first 2 shown]
	v_add_f64_e64 v[102:103], v[52:53], -v[44:45]
	v_fma_f64 v[12:13], v[106:107], -0.5, v[12:13]
	v_fma_f64 v[48:49], v[141:142], -0.5, v[48:49]
	;; [unrolled: 1-line block ×3, first 2 shown]
	v_add_f64_e32 v[52:53], v[16:17], v[52:53]
	v_fma_f64 v[16:17], v[147:148], -0.5, v[16:17]
	v_add_f64_e32 v[95:96], v[114:115], v[96:97]
	v_add_f64_e32 v[76:77], v[116:117], v[76:77]
	;; [unrolled: 1-line block ×9, first 2 shown]
	v_lshlrev_b32_e32 v118, 4, v157
	v_lshl_add_u32 v151, v169, 3, 0
	v_lshl_add_u32 v152, v160, 3, 0
	;; [unrolled: 1-line block ×3, first 2 shown]
	v_mul_u32_u24_e32 v158, 6, v42
	v_fma_f64 v[104:105], v[18:19], s[0:1], v[0:1]
	v_fma_f64 v[0:1], v[18:19], s[6:7], v[0:1]
	v_fma_f64 v[18:19], v[72:73], s[0:1], v[2:3]
	v_fma_f64 v[2:3], v[72:73], s[6:7], v[2:3]
	v_lshlrev_b32_e32 v119, 4, v158
	v_add_f64_e32 v[66:67], v[68:69], v[66:67]
	v_add_f64_e32 v[68:69], v[70:71], v[80:81]
	v_fma_f64 v[80:81], v[14:15], s[6:7], v[60:61]
	v_fma_f64 v[60:61], v[14:15], s[0:1], v[60:61]
	v_and_b32_e32 v24, 0xffff, v24
	v_add_f64_e32 v[70:71], v[84:85], v[82:83]
	v_fma_f64 v[82:83], v[36:37], s[6:7], v[62:63]
	v_fma_f64 v[36:37], v[36:37], s[0:1], v[62:63]
	;; [unrolled: 1-line block ×3, first 2 shown]
	v_add_f64_e32 v[64:65], v[74:75], v[64:65]
	v_fma_f64 v[62:63], v[38:39], s[6:7], v[56:57]
	v_fma_f64 v[8:9], v[46:47], s[6:7], v[8:9]
	;; [unrolled: 1-line block ×17, first 2 shown]
	v_add_f64_e32 v[74:75], v[52:53], v[44:45]
	v_fma_f64 v[108:109], v[22:23], s[6:7], v[16:17]
	v_fma_f64 v[22:23], v[22:23], s[0:1], v[16:17]
	ds_store_2addr_b64 v162, v[95:96], v[104:105] offset1:4
	ds_store_b64 v162, v[0:1] offset:64
	ds_store_2addr_b64 v151, v[97:98], v[18:19] offset1:4
	ds_store_b64 v151, v[2:3] offset:64
	;; [unrolled: 2-line block ×7, first 2 shown]
	global_wb scope:SCOPE_SE
	s_wait_dscnt 0x0
	s_barrier_signal -1
	s_barrier_wait -1
	global_inv scope:SCOPE_SE
	ds_load_2addr_b64 v[4:7], v138 offset1:44
	ds_load_2addr_b64 v[0:3], v138 offset0:88 offset1:132
	ds_load_2addr_b64 v[8:11], v124 offset0:8 offset1:52
	ds_load_2addr_b64 v[12:15], v124 offset0:96 offset1:140
	ds_load_2addr_b64 v[16:19], v125 offset0:16 offset1:60
	ds_load_2addr_b64 v[48:51], v125 offset0:104 offset1:148
	ds_load_2addr_b64 v[32:35], v94 offset0:24 offset1:68
	ds_load_2addr_b64 v[44:47], v138 offset0:176 offset1:220
	ds_load_2addr_b64 v[52:55], v124 offset0:184 offset1:228
	ds_load_2addr_b64 v[56:59], v125 offset0:192 offset1:236
	ds_load_b64 v[86:87], v138 offset:7040
	global_wb scope:SCOPE_SE
	s_wait_dscnt 0x0
	s_barrier_signal -1
	s_barrier_wait -1
	global_inv scope:SCOPE_SE
	ds_store_2addr_b64 v162, v[76:77], v[80:81] offset1:4
	ds_store_b64 v162, v[60:61] offset:64
	ds_store_2addr_b64 v151, v[78:79], v[82:83] offset1:4
	ds_store_b64 v151, v[36:37] offset:64
	;; [unrolled: 2-line block ×7, first 2 shown]
	global_wb scope:SCOPE_SE
	s_wait_dscnt 0x0
	s_barrier_signal -1
	s_barrier_wait -1
	global_inv scope:SCOPE_SE
	s_clause 0x3
	global_load_b128 v[60:63], v118, s[4:5] offset:176
	global_load_b128 v[78:81], v118, s[4:5] offset:240
	;; [unrolled: 1-line block ×4, first 2 shown]
	v_mul_u32_u24_e32 v103, 6, v43
	s_mov_b32 s6, 0x36b3c0b5
	s_mov_b32 s7, 0x3fac98ee
	v_mul_u32_u24_e32 v24, 0x2a0, v24
	v_cmp_gt_u32_e64 s0, 40, v136
	v_lshlrev_b32_e32 v20, 4, v103
	s_clause 0xd
	global_load_b128 v[70:73], v119, s[4:5] offset:176
	global_load_b128 v[90:93], v119, s[4:5] offset:240
	;; [unrolled: 1-line block ×14, first 2 shown]
	ds_load_2addr_b64 v[100:103], v124 offset0:8 offset1:52
	ds_load_2addr_b64 v[163:166], v94 offset0:24 offset1:68
	;; [unrolled: 1-line block ×7, first 2 shown]
	ds_load_b64 v[130:131], v138 offset:7040
	ds_load_2addr_b64 v[183:186], v125 offset0:16 offset1:60
	ds_load_2addr_b64 v[187:190], v124 offset0:184 offset1:228
	s_wait_loadcnt_dscnt 0xd09
	v_mul_f64_e32 v[64:65], v[102:103], v[72:73]
	s_wait_loadcnt_dscnt 0xc08
	v_mul_f64_e32 v[66:67], v[165:166], v[92:93]
	;; [unrolled: 2-line block ×3, first 2 shown]
	v_mul_f64_e32 v[26:27], v[100:101], v[62:63]
	v_mul_f64_e32 v[28:29], v[163:164], v[80:81]
	;; [unrolled: 1-line block ×4, first 2 shown]
	s_wait_loadcnt_dscnt 0xa04
	v_mul_f64_e32 v[94:95], v[175:176], v[110:111]
	s_wait_loadcnt 0x9
	v_mul_f64_e32 v[118:119], v[173:174], v[116:117]
	s_wait_loadcnt_dscnt 0x803
	v_mul_f64_e32 v[191:192], v[179:180], v[122:123]
	s_wait_loadcnt_dscnt 0x702
	v_mul_f64_e32 v[193:194], v[130:131], v[128:129]
	s_wait_loadcnt 0x6
	v_mul_f64_e32 v[195:196], v[177:178], v[141:142]
	v_mul_f64_e32 v[62:63], v[8:9], v[62:63]
	;; [unrolled: 1-line block ×3, first 2 shown]
	s_wait_loadcnt_dscnt 0x501
	v_mul_f64_e32 v[197:198], v[183:184], v[76:77]
	v_mul_f64_e32 v[76:77], v[16:17], v[76:77]
	;; [unrolled: 1-line block ×3, first 2 shown]
	s_wait_loadcnt 0x3
	v_mul_f64_e32 v[203:204], v[181:182], v[149:150]
	v_mul_f64_e32 v[149:150], v[14:15], v[149:150]
	;; [unrolled: 1-line block ×10, first 2 shown]
	s_wait_loadcnt 0x2
	v_mul_f64_e32 v[205:206], v[52:53], v[153:154]
	s_wait_dscnt 0x0
	v_mul_f64_e32 v[153:154], v[187:188], v[153:154]
	v_mul_f64_e32 v[201:202], v[46:47], v[116:117]
	;; [unrolled: 1-line block ×3, first 2 shown]
	s_wait_loadcnt 0x1
	v_mul_f64_e32 v[209:210], v[189:190], v[157:158]
	v_fma_f64 v[34:35], v[34:35], v[90:91], v[66:67]
	v_fma_f64 v[30:31], v[8:9], v[60:61], v[26:27]
	;; [unrolled: 1-line block ×8, first 2 shown]
	s_wait_loadcnt 0x0
	v_mul_f64_e32 v[2:3], v[167:168], v[161:162]
	v_mul_f64_e32 v[8:9], v[54:55], v[157:158]
	;; [unrolled: 1-line block ×3, first 2 shown]
	v_fma_f64 v[46:47], v[46:47], v[114:115], v[118:119]
	v_fma_f64 v[66:67], v[12:13], v[120:121], v[191:192]
	v_fma_f64 v[64:65], v[86:87], v[126:127], v[193:194]
	v_fma_f64 v[68:69], v[58:59], v[139:140], v[195:196]
	v_mul_f64_e32 v[50:51], v[86:87], v[128:129]
	v_fma_f64 v[116:117], v[100:101], v[60:61], -v[62:63]
	v_fma_f64 v[100:101], v[102:103], v[70:71], -v[72:73]
	v_fma_f64 v[72:73], v[16:17], v[74:75], v[197:198]
	v_fma_f64 v[76:77], v[183:184], v[74:75], -v[76:77]
	v_fma_f64 v[118:119], v[163:164], v[78:79], -v[80:81]
	v_fma_f64 v[78:79], v[14:15], v[147:148], v[203:204]
	v_fma_f64 v[84:85], v[181:182], v[147:148], -v[149:150]
	v_fma_f64 v[94:95], v[179:180], v[120:121], -v[122:123]
	v_fma_f64 v[120:121], v[169:170], v[96:97], -v[98:99]
	v_fma_f64 v[122:123], v[22:23], v[82:83], -v[207:208]
	v_fma_f64 v[70:71], v[18:19], v[143:144], v[199:200]
	v_fma_f64 v[74:75], v[185:186], v[143:144], -v[145:146]
	v_fma_f64 v[102:103], v[165:166], v[90:91], -v[92:93]
	;; [unrolled: 5-line block ×3, first 2 shown]
	v_fma_f64 v[82:83], v[54:55], v[155:156], v[209:210]
	v_fma_f64 v[90:91], v[173:174], v[114:115], -v[201:202]
	v_add_f64_e32 v[12:13], v[28:29], v[26:27]
	v_add_f64_e32 v[14:15], v[30:31], v[32:33]
	;; [unrolled: 1-line block ×4, first 2 shown]
	v_fma_f64 v[92:93], v[48:49], v[159:160], v[2:3]
	v_fma_f64 v[106:107], v[189:190], v[155:156], -v[8:9]
	v_fma_f64 v[110:111], v[167:168], v[159:160], -v[10:11]
	v_add_f64_e32 v[2:3], v[46:47], v[64:65]
	v_add_f64_e32 v[8:9], v[66:67], v[68:69]
	v_fma_f64 v[114:115], v[130:131], v[126:127], -v[50:51]
	v_add_f64_e32 v[10:11], v[78:79], v[72:73]
	v_add_f64_e64 v[48:49], v[76:77], -v[84:85]
	v_add_f64_e64 v[22:23], v[116:117], -v[120:121]
	;; [unrolled: 1-line block ×5, first 2 shown]
	v_add_f64_e32 v[54:55], v[86:87], v[70:71]
	v_add_f64_e64 v[58:59], v[74:75], -v[96:97]
	v_add_f64_e64 v[126:127], v[94:95], -v[98:99]
	v_add_f64_e32 v[52:53], v[14:15], v[12:13]
	v_add_f64_e32 v[62:63], v[18:19], v[16:17]
	;; [unrolled: 1-line block ×3, first 2 shown]
	v_add_f64_e64 v[128:129], v[110:111], -v[106:107]
	v_add_f64_e32 v[139:140], v[8:9], v[2:3]
	v_add_f64_e64 v[130:131], v[90:91], -v[114:115]
	v_add_f64_e64 v[141:142], v[12:13], -v[10:11]
	v_add_f64_e64 v[143:144], v[10:11], -v[14:15]
	v_add_f64_e64 v[12:13], v[14:15], -v[12:13]
	v_add_f64_e64 v[145:146], v[48:49], -v[22:23]
	v_add_f64_e64 v[147:148], v[22:23], -v[50:51]
	v_add_f64_e32 v[22:23], v[48:49], v[22:23]
	v_add_f64_e64 v[14:15], v[50:51], -v[48:49]
	v_add_f64_e64 v[153:154], v[56:57], -v[60:61]
	;; [unrolled: 1-line block ×4, first 2 shown]
	v_add_f64_e32 v[56:57], v[58:59], v[56:57]
	v_add_f64_e64 v[58:59], v[60:61], -v[58:59]
	v_add_f64_e32 v[10:11], v[10:11], v[52:53]
	v_add_f64_e64 v[52:53], v[16:17], -v[54:55]
	v_add_f64_e64 v[16:17], v[18:19], -v[16:17]
	v_add_f64_e32 v[54:55], v[54:55], v[62:63]
	v_add_f64_e64 v[62:63], v[2:3], -v[80:81]
	v_add_f64_e64 v[155:156], v[128:129], -v[126:127]
	v_add_f64_e32 v[48:49], v[128:129], v[126:127]
	v_add_f64_e32 v[139:140], v[80:81], v[139:140]
	v_add_f64_e64 v[157:158], v[126:127], -v[130:131]
	v_add_f64_e64 v[80:81], v[80:81], -v[8:9]
	v_add_f64_e64 v[128:129], v[130:131], -v[128:129]
	v_mul_f64_e32 v[126:127], s[12:13], v[141:142]
	s_wait_alu 0xfffe
	v_mul_f64_e32 v[141:142], s[6:7], v[143:144]
	v_mul_f64_e32 v[18:19], s[14:15], v[145:146]
	;; [unrolled: 1-line block ×5, first 2 shown]
	v_add_f64_e32 v[159:160], v[4:5], v[10:11]
	v_mul_f64_e32 v[4:5], s[12:13], v[52:53]
	v_mul_f64_e32 v[52:53], s[6:7], v[149:150]
	v_add_f64_e32 v[163:164], v[6:7], v[54:55]
	v_mul_f64_e32 v[62:63], s[12:13], v[62:63]
	v_mul_f64_e32 v[155:156], s[14:15], v[155:156]
	v_add_f64_e32 v[48:49], v[48:49], v[130:131]
	v_add_f64_e32 v[6:7], v[0:1], v[139:140]
	v_mul_f64_e32 v[165:166], s[8:9], v[157:158]
	v_add_f64_e64 v[0:1], v[8:9], -v[2:3]
	v_mul_f64_e32 v[2:3], s[6:7], v[80:81]
	v_add_f64_e32 v[8:9], v[22:23], v[50:51]
	v_add_f64_e32 v[22:23], v[56:57], v[60:61]
	v_fma_f64 v[50:51], v[143:144], s[6:7], v[126:127]
	v_fma_f64 v[56:57], v[12:13], s[16:17], -v[141:142]
	v_fma_f64 v[12:13], v[12:13], s[18:19], -v[126:127]
	v_fma_f64 v[60:61], v[14:15], s[24:25], v[18:19]
	v_fma_f64 v[18:19], v[147:148], s[8:9], -v[18:19]
	v_fma_f64 v[14:15], v[14:15], s[22:23], -v[145:146]
	;; [unrolled: 3-line block ×3, first 2 shown]
	v_fma_f64 v[10:11], v[10:11], s[20:21], v[159:160]
	v_fma_f64 v[126:127], v[149:150], s[6:7], v[4:5]
	v_fma_f64 v[52:53], v[16:17], s[16:17], -v[52:53]
	v_fma_f64 v[54:55], v[54:55], s[20:21], v[163:164]
	v_fma_f64 v[4:5], v[16:17], s[18:19], -v[4:5]
	v_fma_f64 v[16:17], v[80:81], s[6:7], v[62:63]
	v_fma_f64 v[80:81], v[128:129], s[24:25], v[155:156]
	v_fma_f64 v[143:144], v[157:158], s[8:9], -v[155:156]
	v_fma_f64 v[139:140], v[139:140], s[20:21], v[6:7]
	v_fma_f64 v[128:129], v[128:129], s[22:23], -v[165:166]
	v_fma_f64 v[62:63], v[0:1], s[18:19], -v[62:63]
	;; [unrolled: 1-line block ×3, first 2 shown]
	v_fma_f64 v[2:3], v[8:9], s[26:27], v[60:61]
	v_fma_f64 v[18:19], v[8:9], s[26:27], v[18:19]
	;; [unrolled: 1-line block ×3, first 2 shown]
	v_add_f64_e32 v[14:15], v[50:51], v[10:11]
	v_add_f64_e32 v[12:13], v[12:13], v[10:11]
	;; [unrolled: 1-line block ×3, first 2 shown]
	v_fma_f64 v[50:51], v[22:23], s[26:27], v[130:131]
	v_fma_f64 v[56:57], v[22:23], s[26:27], v[141:142]
	v_fma_f64 v[22:23], v[22:23], s[26:27], v[58:59]
	v_add_f64_e32 v[58:59], v[126:127], v[54:55]
	v_add_f64_e32 v[4:5], v[4:5], v[54:55]
	;; [unrolled: 1-line block ×3, first 2 shown]
	v_fma_f64 v[54:55], v[48:49], s[26:27], v[80:81]
	v_add_f64_e32 v[80:81], v[16:17], v[139:140]
	v_fma_f64 v[60:61], v[48:49], s[26:27], v[143:144]
	v_fma_f64 v[48:49], v[48:49], s[26:27], v[128:129]
	v_add_f64_e32 v[16:17], v[62:63], v[139:140]
	v_add_f64_e32 v[62:63], v[0:1], v[139:140]
	v_add_nc_u32_e32 v126, 0xc00, v138
	v_add_f64_e32 v[130:131], v[2:3], v[14:15]
	v_add_f64_e32 v[139:140], v[8:9], v[12:13]
	v_add_f64_e64 v[141:142], v[10:11], -v[18:19]
	v_add_f64_e32 v[143:144], v[18:19], v[10:11]
	v_add_f64_e64 v[145:146], v[12:13], -v[8:9]
	v_add_f64_e64 v[147:148], v[14:15], -v[2:3]
	v_add_f64_e32 v[149:150], v[50:51], v[58:59]
	v_add_f64_e32 v[151:152], v[22:23], v[4:5]
	v_add_f64_e64 v[153:154], v[52:53], -v[56:57]
	v_add_f64_e32 v[0:1], v[56:57], v[52:53]
	v_add_f64_e64 v[2:3], v[4:5], -v[22:23]
	v_add_f64_e64 v[4:5], v[58:59], -v[50:51]
	;; [unrolled: 6-line block ×3, first 2 shown]
	v_and_b32_e32 v22, 0xffff, v40
	v_and_b32_e32 v23, 0xffff, v25
	v_lshlrev_b32_e32 v25, 3, v41
	v_lshlrev_b32_e32 v40, 3, v42
	;; [unrolled: 1-line block ×3, first 2 shown]
	v_mul_u32_u24_e32 v22, 0x2a0, v22
	v_mul_u32_u24_e32 v23, 0x2a0, v23
	s_delay_alu instid0(VALU_DEP_3) | instskip(NEXT) | instid1(VALU_DEP_3)
	v_add3_u32 v127, 0, v24, v41
	v_add3_u32 v129, 0, v22, v25
	s_delay_alu instid0(VALU_DEP_3)
	v_add3_u32 v128, 0, v23, v40
	ds_load_2addr_b64 v[22:25], v138 offset1:44
	global_wb scope:SCOPE_SE
	s_wait_dscnt 0x0
	s_barrier_signal -1
	s_barrier_wait -1
	global_inv scope:SCOPE_SE
	ds_store_2addr_b64 v129, v[159:160], v[130:131] offset1:12
	ds_store_2addr_b64 v129, v[139:140], v[141:142] offset0:24 offset1:36
	ds_store_2addr_b64 v129, v[143:144], v[145:146] offset0:48 offset1:60
	ds_store_b64 v129, v[147:148] offset:576
	ds_store_2addr_b64 v128, v[163:164], v[149:150] offset1:12
	ds_store_2addr_b64 v128, v[151:152], v[153:154] offset0:24 offset1:36
	ds_store_2addr_b64 v128, v[0:1], v[2:3] offset0:48 offset1:60
	ds_store_b64 v128, v[4:5] offset:576
	;; [unrolled: 4-line block ×3, first 2 shown]
	global_wb scope:SCOPE_SE
	s_wait_dscnt 0x0
	s_barrier_signal -1
	s_barrier_wait -1
	global_inv scope:SCOPE_SE
	ds_load_2addr_b64 v[40:43], v138 offset1:84
	ds_load_2addr_b64 v[56:59], v138 offset0:168 offset1:252
	ds_load_2addr_b64 v[48:51], v124 offset0:80 offset1:164
	;; [unrolled: 1-line block ×4, first 2 shown]
	ds_load_b64 v[80:81], v138 offset:6720
	s_and_saveexec_b32 s1, s0
	s_cbranch_execz .LBB0_29
; %bb.28:
	v_add_nc_u32_e32 v4, 0x400, v138
	v_add_nc_u32_e32 v8, 0x800, v138
	;; [unrolled: 1-line block ×4, first 2 shown]
	ds_load_2addr_b64 v[0:3], v138 offset0:44 offset1:128
	ds_load_2addr_b64 v[4:7], v4 offset0:84 offset1:168
	;; [unrolled: 1-line block ×5, first 2 shown]
	ds_load_b64 v[112:113], v138 offset:7072
.LBB0_29:
	s_wait_alu 0xfffe
	s_or_b32 exec_lo, exec_lo, s1
	v_add_f64_e32 v[118:119], v[122:123], v[118:119]
	v_add_f64_e32 v[116:117], v[116:117], v[120:121]
	;; [unrolled: 1-line block ×7, first 2 shown]
	v_add_f64_e64 v[30:31], v[30:31], -v[32:33]
	v_add_f64_e64 v[32:33], v[72:73], -v[78:79]
	;; [unrolled: 1-line block ×3, first 2 shown]
	v_add_f64_e32 v[72:73], v[96:97], v[74:75]
	v_add_f64_e64 v[38:39], v[38:39], -v[44:45]
	v_add_f64_e64 v[44:45], v[70:71], -v[86:87]
	;; [unrolled: 1-line block ×4, first 2 shown]
	v_add_f64_e32 v[68:69], v[106:107], v[110:111]
	v_add_f64_e64 v[70:71], v[92:93], -v[82:83]
	v_add_f64_e64 v[46:47], v[46:47], -v[64:65]
	global_wb scope:SCOPE_SE
	s_wait_dscnt 0x0
	s_barrier_signal -1
	s_barrier_wait -1
	global_inv scope:SCOPE_SE
	v_add_f64_e32 v[26:27], v[116:117], v[118:119]
	v_add_f64_e64 v[106:107], v[116:117], -v[118:119]
	v_add_f64_e32 v[36:37], v[100:101], v[102:103]
	v_add_f64_e32 v[64:65], v[94:95], v[90:91]
	v_add_f64_e64 v[74:75], v[118:119], -v[76:77]
	v_add_f64_e64 v[78:79], v[76:77], -v[116:117]
	;; [unrolled: 1-line block ×5, first 2 shown]
	v_add_f64_e32 v[30:31], v[32:33], v[30:31]
	v_add_f64_e64 v[92:93], v[44:45], -v[38:39]
	v_add_f64_e64 v[96:97], v[38:39], -v[34:35]
	;; [unrolled: 1-line block ×3, first 2 shown]
	v_add_f64_e32 v[38:39], v[44:45], v[38:39]
	v_add_f64_e64 v[98:99], v[70:71], -v[66:67]
	v_add_f64_e64 v[104:105], v[66:67], -v[46:47]
	v_add_f64_e32 v[66:67], v[70:71], v[66:67]
	v_add_f64_e64 v[100:101], v[100:101], -v[102:103]
	v_add_f64_e64 v[44:45], v[34:35], -v[44:45]
	v_add_f64_e32 v[76:77], v[76:77], v[26:27]
	v_add_f64_e64 v[26:27], v[102:103], -v[72:73]
	v_add_f64_e32 v[36:37], v[72:73], v[36:37]
	;; [unrolled: 2-line block ×3, first 2 shown]
	v_add_f64_e64 v[68:69], v[68:69], -v[94:95]
	v_mul_f64_e32 v[74:75], s[12:13], v[74:75]
	v_mul_f64_e32 v[82:83], s[14:15], v[82:83]
	v_mul_f64_e32 v[102:103], s[8:9], v[84:85]
	v_mul_f64_e32 v[108:109], s[6:7], v[78:79]
	v_mul_f64_e32 v[114:115], s[6:7], v[86:87]
	v_mul_f64_e32 v[92:93], s[14:15], v[92:93]
	v_mul_f64_e32 v[116:117], s[8:9], v[96:97]
	v_add_f64_e32 v[28:29], v[30:31], v[28:29]
	v_add_f64_e32 v[30:31], v[38:39], v[34:35]
	;; [unrolled: 1-line block ×4, first 2 shown]
	v_mul_f64_e32 v[22:23], s[12:13], v[26:27]
	v_add_f64_e32 v[118:119], v[24:25], v[36:37]
	v_add_f64_e64 v[24:25], v[46:47], -v[70:71]
	v_mul_f64_e32 v[70:71], s[12:13], v[72:73]
	v_mul_f64_e32 v[72:73], s[14:15], v[98:99]
	v_add_f64_e32 v[26:27], v[20:21], v[64:65]
	v_mul_f64_e32 v[98:99], s[8:9], v[104:105]
	v_add_f64_e64 v[20:21], v[94:95], -v[90:91]
	v_mul_f64_e32 v[90:91], s[6:7], v[68:69]
	v_fma_f64 v[38:39], v[78:79], s[6:7], v[74:75]
	v_fma_f64 v[66:67], v[106:107], s[18:19], -v[74:75]
	v_fma_f64 v[74:75], v[32:33], s[24:25], v[82:83]
	v_fma_f64 v[78:79], v[84:85], s[8:9], -v[82:83]
	v_fma_f64 v[32:33], v[32:33], s[22:23], -v[102:103]
	v_fma_f64 v[46:47], v[106:107], s[16:17], -v[108:109]
	v_fma_f64 v[84:85], v[100:101], s[16:17], -v[114:115]
	v_fma_f64 v[76:77], v[76:77], s[20:21], v[110:111]
	v_fma_f64 v[82:83], v[86:87], s[6:7], v[22:23]
	;; [unrolled: 1-line block ×3, first 2 shown]
	v_fma_f64 v[92:93], v[96:97], s[8:9], -v[92:93]
	v_fma_f64 v[44:45], v[44:45], s[22:23], -v[116:117]
	v_fma_f64 v[36:37], v[36:37], s[20:21], v[118:119]
	v_fma_f64 v[22:23], v[100:101], s[18:19], -v[22:23]
	v_fma_f64 v[68:69], v[68:69], s[6:7], v[70:71]
	v_fma_f64 v[94:95], v[24:25], s[24:25], v[72:73]
	;; [unrolled: 1-line block ×3, first 2 shown]
	v_fma_f64 v[72:73], v[104:105], s[8:9], -v[72:73]
	v_fma_f64 v[24:25], v[24:25], s[22:23], -v[98:99]
	;; [unrolled: 1-line block ×4, first 2 shown]
	v_fma_f64 v[74:75], v[28:29], s[26:27], v[74:75]
	v_fma_f64 v[78:79], v[28:29], s[26:27], v[78:79]
	;; [unrolled: 1-line block ×3, first 2 shown]
	v_add_f64_e32 v[32:33], v[38:39], v[76:77]
	v_add_f64_e32 v[38:39], v[66:67], v[76:77]
	v_add_f64_e32 v[46:47], v[46:47], v[76:77]
	v_fma_f64 v[66:67], v[30:31], s[26:27], v[86:87]
	v_fma_f64 v[76:77], v[30:31], s[26:27], v[92:93]
	;; [unrolled: 1-line block ×3, first 2 shown]
	v_add_f64_e32 v[44:45], v[82:83], v[36:37]
	v_add_f64_e32 v[22:23], v[22:23], v[36:37]
	;; [unrolled: 1-line block ×3, first 2 shown]
	v_fma_f64 v[82:83], v[34:35], s[26:27], v[94:95]
	v_add_f64_e32 v[68:69], v[68:69], v[64:65]
	v_fma_f64 v[72:73], v[34:35], s[26:27], v[72:73]
	v_fma_f64 v[84:85], v[34:35], s[26:27], v[24:25]
	v_add_f64_e32 v[70:71], v[70:71], v[64:65]
	v_add_f64_e32 v[34:35], v[20:21], v[64:65]
	v_add_f64_e64 v[64:65], v[32:33], -v[74:75]
	v_add_f64_e64 v[86:87], v[38:39], -v[28:29]
	v_add_f64_e32 v[90:91], v[78:79], v[46:47]
	v_add_f64_e64 v[46:47], v[46:47], -v[78:79]
	v_add_f64_e32 v[78:79], v[28:29], v[38:39]
	v_add_f64_e32 v[74:75], v[74:75], v[32:33]
	v_add_f64_e64 v[92:93], v[44:45], -v[66:67]
	v_add_f64_e64 v[94:95], v[22:23], -v[30:31]
	v_add_f64_e32 v[96:97], v[76:77], v[36:37]
	v_add_f64_e64 v[20:21], v[36:37], -v[76:77]
	;; [unrolled: 6-line block ×3, first 2 shown]
	v_add_f64_e32 v[36:37], v[84:85], v[70:71]
	v_add_f64_e32 v[38:39], v[82:83], v[68:69]
	v_add_nc_u32_e32 v84, 0x800, v138
	v_add_nc_u32_e32 v85, 0x1000, v138
	ds_store_2addr_b64 v129, v[110:111], v[64:65] offset1:12
	ds_store_2addr_b64 v129, v[86:87], v[90:91] offset0:24 offset1:36
	ds_store_2addr_b64 v129, v[46:47], v[78:79] offset0:48 offset1:60
	ds_store_b64 v129, v[74:75] offset:576
	ds_store_2addr_b64 v128, v[118:119], v[92:93] offset1:12
	ds_store_2addr_b64 v128, v[94:95], v[96:97] offset0:24 offset1:36
	ds_store_2addr_b64 v128, v[20:21], v[22:23] offset0:48 offset1:60
	ds_store_b64 v128, v[24:25] offset:576
	;; [unrolled: 4-line block ×3, first 2 shown]
	global_wb scope:SCOPE_SE
	s_wait_dscnt 0x0
	s_barrier_signal -1
	s_barrier_wait -1
	global_inv scope:SCOPE_SE
	ds_load_2addr_b64 v[44:47], v138 offset1:84
	ds_load_2addr_b64 v[72:75], v138 offset0:168 offset1:252
	ds_load_2addr_b64 v[64:67], v84 offset0:80 offset1:164
	;; [unrolled: 1-line block ×4, first 2 shown]
	ds_load_b64 v[82:83], v138 offset:6720
	s_and_saveexec_b32 s1, s0
	s_cbranch_execz .LBB0_31
; %bb.30:
	v_add_nc_u32_e32 v24, 0x400, v138
	v_add_nc_u32_e32 v36, 0x1400, v138
	ds_load_2addr_b64 v[20:23], v138 offset0:44 offset1:128
	ds_load_2addr_b64 v[28:31], v84 offset0:124 offset1:208
	;; [unrolled: 1-line block ×5, first 2 shown]
	ds_load_b64 v[88:89], v138 offset:7072
.LBB0_31:
	s_wait_alu 0xfffe
	s_or_b32 exec_lo, exec_lo, s1
	s_and_saveexec_b32 s1, vcc_lo
	s_cbranch_execz .LBB0_34
; %bb.32:
	v_mul_u32_u24_e32 v84, 10, v136
	s_mov_b32 s6, 0x43842ef
	s_mov_b32 s12, 0x8eee2c13
	;; [unrolled: 1-line block ×4, first 2 shown]
	v_lshlrev_b32_e32 v110, 4, v84
	s_mov_b32 s30, 0xfd768dbf
	s_mov_b32 s7, 0xbfefac9e
	;; [unrolled: 1-line block ×4, first 2 shown]
	s_clause 0x9
	global_load_b128 v[84:87], v110, s[4:5] offset:1312
	global_load_b128 v[90:93], v110, s[4:5] offset:1344
	;; [unrolled: 1-line block ×10, first 2 shown]
	s_mov_b32 s23, 0x3fe14ced
	s_mov_b32 s31, 0xbfd207e7
	;; [unrolled: 1-line block ×4, first 2 shown]
	s_wait_alu 0xfffe
	s_mov_b32 s28, s22
	s_mov_b32 s26, s12
	;; [unrolled: 1-line block ×16, first 2 shown]
	s_wait_loadcnt 0x9
	v_mul_f64_e32 v[110:111], v[42:43], v[86:87]
	s_wait_dscnt 0x5
	v_mul_f64_e32 v[86:87], v[46:47], v[86:87]
	s_wait_loadcnt_dscnt 0x804
	v_mul_f64_e32 v[130:131], v[74:75], v[92:93]
	s_wait_loadcnt_dscnt 0x701
	v_mul_f64_e32 v[138:139], v[76:77], v[96:97]
	v_mul_f64_e32 v[92:93], v[58:59], v[92:93]
	;; [unrolled: 1-line block ×3, first 2 shown]
	s_wait_loadcnt 0x6
	v_mul_f64_e32 v[140:141], v[72:73], v[100:101]
	s_wait_loadcnt 0x5
	v_mul_f64_e32 v[142:143], v[78:79], v[104:105]
	v_mul_f64_e32 v[100:101], v[56:57], v[100:101]
	;; [unrolled: 1-line block ×3, first 2 shown]
	s_wait_loadcnt_dscnt 0x400
	v_mul_f64_e32 v[144:145], v[82:83], v[108:109]
	v_mul_f64_e32 v[108:109], v[80:81], v[108:109]
	s_wait_loadcnt 0x2
	v_mul_f64_e32 v[146:147], v[70:71], v[120:121]
	v_mul_f64_e32 v[120:121], v[54:55], v[120:121]
	s_wait_loadcnt 0x1
	v_mul_f64_e32 v[148:149], v[66:67], v[124:125]
	s_wait_loadcnt 0x0
	v_mul_f64_e32 v[150:151], v[68:69], v[128:129]
	v_mul_f64_e32 v[124:125], v[50:51], v[124:125]
	v_mul_f64_e32 v[128:129], v[52:53], v[128:129]
	v_fma_f64 v[110:111], v[46:47], v[84:85], -v[110:111]
	v_fma_f64 v[84:85], v[42:43], v[84:85], v[86:87]
	v_fma_f64 v[130:131], v[58:59], v[90:91], v[130:131]
	v_mul_f64_e32 v[86:87], v[64:65], v[116:117]
	v_fma_f64 v[90:91], v[74:75], v[90:91], -v[92:93]
	v_fma_f64 v[74:75], v[76:77], v[94:95], -v[96:97]
	v_fma_f64 v[76:77], v[56:57], v[98:99], v[140:141]
	v_fma_f64 v[56:57], v[62:63], v[102:103], v[142:143]
	v_fma_f64 v[62:63], v[72:73], v[98:99], -v[100:101]
	v_fma_f64 v[58:59], v[78:79], v[102:103], -v[104:105]
	v_fma_f64 v[42:43], v[80:81], v[106:107], v[144:145]
	v_fma_f64 v[46:47], v[82:83], v[106:107], -v[108:109]
	v_mul_f64_e32 v[116:117], v[48:49], v[116:117]
	v_fma_f64 v[60:61], v[60:61], v[94:95], v[138:139]
	v_fma_f64 v[54:55], v[54:55], v[118:119], v[146:147]
	v_fma_f64 v[70:71], v[70:71], v[118:119], -v[120:121]
	v_fma_f64 v[50:51], v[50:51], v[122:123], v[148:149]
	v_fma_f64 v[52:53], v[52:53], v[126:127], v[150:151]
	v_fma_f64 v[66:67], v[66:67], v[122:123], -v[124:125]
	v_fma_f64 v[68:69], v[68:69], v[126:127], -v[128:129]
	v_add_f64_e32 v[72:73], v[44:45], v[110:111]
	v_add_f64_e32 v[78:79], v[40:41], v[84:85]
	v_fma_f64 v[48:49], v[48:49], v[114:115], v[86:87]
	v_add_f64_e64 v[92:93], v[90:91], -v[74:75]
	v_add_f64_e32 v[98:99], v[90:91], v[74:75]
	v_add_f64_e64 v[82:83], v[76:77], -v[56:57]
	v_add_f64_e64 v[94:95], v[62:63], -v[58:59]
	;; [unrolled: 1-line block ×4, first 2 shown]
	v_fma_f64 v[64:65], v[64:65], v[114:115], -v[116:117]
	v_add_f64_e64 v[80:81], v[130:131], -v[60:61]
	v_add_f64_e32 v[100:101], v[110:111], v[46:47]
	v_add_f64_e32 v[102:103], v[130:131], v[60:61]
	;; [unrolled: 1-line block ×3, first 2 shown]
	v_add_f64_e64 v[108:109], v[50:51], -v[52:53]
	v_add_f64_e32 v[120:121], v[50:51], v[52:53]
	v_add_f64_e64 v[110:111], v[66:67], -v[68:69]
	v_add_f64_e32 v[118:119], v[66:67], v[68:69]
	v_add_f64_e32 v[72:73], v[62:63], v[72:73]
	;; [unrolled: 1-line block ×4, first 2 shown]
	v_add_f64_e64 v[104:105], v[48:49], -v[54:55]
	v_add_f64_e32 v[116:117], v[48:49], v[54:55]
	v_add_f64_e32 v[76:77], v[76:77], v[56:57]
	v_mul_f64_e32 v[128:129], s[16:17], v[92:93]
	v_mul_f64_e32 v[124:125], s[22:23], v[82:83]
	s_wait_alu 0xfffe
	v_mul_f64_e32 v[150:151], s[20:21], v[82:83]
	v_mul_f64_e32 v[138:139], s[22:23], v[94:95]
	;; [unrolled: 1-line block ×10, first 2 shown]
	v_add_f64_e64 v[106:107], v[64:65], -v[70:71]
	v_add_f64_e32 v[114:115], v[64:65], v[70:71]
	v_mul_f64_e32 v[156:157], s[36:37], v[82:83]
	v_mul_f64_e32 v[160:161], s[36:37], v[94:95]
	;; [unrolled: 1-line block ×18, first 2 shown]
	v_add_f64_e32 v[72:73], v[90:91], v[72:73]
	v_add_f64_e32 v[78:79], v[130:131], v[78:79]
	v_mul_f64_e32 v[130:131], s[16:17], v[96:97]
	v_mul_f64_e32 v[96:97], s[28:29], v[96:97]
	;; [unrolled: 1-line block ×6, first 2 shown]
	v_fma_f64 v[224:225], v[62:63], s[8:9], v[150:151]
	v_fma_f64 v[210:211], v[76:77], s[24:25], -v[138:139]
	v_fma_f64 v[206:207], v[100:101], s[34:35], v[126:127]
	v_fma_f64 v[212:213], v[84:85], s[34:35], -v[140:141]
	v_fma_f64 v[126:127], v[100:101], s[34:35], -v[126:127]
	v_fma_f64 v[214:215], v[100:101], s[18:19], v[142:143]
	v_fma_f64 v[142:143], v[100:101], s[18:19], -v[142:143]
	v_fma_f64 v[216:217], v[100:101], s[8:9], v[144:145]
	;; [unrolled: 2-line block ×5, first 2 shown]
	v_fma_f64 v[230:231], v[84:85], s[14:15], v[166:167]
	v_fma_f64 v[228:229], v[84:85], s[8:9], -v[162:163]
	v_fma_f64 v[162:163], v[84:85], s[8:9], v[162:163]
	v_fma_f64 v[166:167], v[84:85], s[14:15], -v[166:167]
	;; [unrolled: 2-line block ×3, first 2 shown]
	v_fma_f64 v[236:237], v[76:77], s[34:35], -v[160:161]
	v_fma_f64 v[160:161], v[76:77], s[34:35], v[160:161]
	v_fma_f64 v[238:239], v[62:63], s[18:19], v[168:169]
	v_fma_f64 v[240:241], v[76:77], s[18:19], -v[172:173]
	v_fma_f64 v[168:169], v[62:63], s[18:19], -v[168:169]
	v_fma_f64 v[172:173], v[76:77], s[18:19], v[172:173]
	v_fma_f64 v[242:243], v[62:63], s[14:15], v[82:83]
	v_mul_f64_e32 v[180:181], s[30:31], v[106:107]
	v_mul_f64_e32 v[186:187], s[20:21], v[104:105]
	;; [unrolled: 1-line block ×3, first 2 shown]
	v_add_f64_e32 v[64:65], v[64:65], v[72:73]
	v_add_f64_e32 v[48:49], v[48:49], v[78:79]
	v_fma_f64 v[222:223], v[84:85], s[18:19], -v[130:131]
	v_fma_f64 v[130:131], v[84:85], s[18:19], v[130:131]
	v_fma_f64 v[232:233], v[84:85], s[24:25], -v[96:97]
	v_fma_f64 v[84:85], v[84:85], s[24:25], v[96:97]
	v_mul_f64_e32 v[72:73], s[30:31], v[110:111]
	v_fma_f64 v[110:111], v[62:63], s[24:25], v[124:125]
	v_fma_f64 v[124:125], v[62:63], s[24:25], -v[124:125]
	v_fma_f64 v[96:97], v[76:77], s[8:9], -v[90:91]
	v_fma_f64 v[78:79], v[98:99], s[18:19], v[122:123]
	v_fma_f64 v[208:209], v[102:103], s[18:19], -v[128:129]
	v_add_f64_e32 v[126:127], v[44:45], v[126:127]
	v_fma_f64 v[122:123], v[98:99], s[18:19], -v[122:123]
	v_add_f64_e32 v[142:143], v[44:45], v[142:143]
	v_add_f64_e32 v[216:217], v[44:45], v[216:217]
	;; [unrolled: 1-line block ×6, first 2 shown]
	v_fma_f64 v[140:141], v[98:99], s[24:25], v[146:147]
	v_add_f64_e32 v[100:101], v[40:41], v[100:101]
	v_fma_f64 v[226:227], v[102:103], s[24:25], -v[152:153]
	v_add_f64_e32 v[228:229], v[40:41], v[228:229]
	v_add_f64_e32 v[162:163], v[40:41], v[162:163]
	;; [unrolled: 1-line block ×3, first 2 shown]
	v_mul_f64_e32 v[184:185], s[28:29], v[106:107]
	v_fma_f64 v[128:129], v[102:103], s[18:19], v[128:129]
	v_fma_f64 v[234:235], v[102:103], s[14:15], -v[158:159]
	v_fma_f64 v[158:159], v[102:103], s[14:15], v[158:159]
	v_mul_f64_e32 v[176:177], s[12:13], v[106:107]
	v_mul_f64_e32 v[178:179], s[30:31], v[104:105]
	v_fma_f64 v[146:147], v[98:99], s[24:25], -v[146:147]
	v_fma_f64 v[152:153], v[102:103], s[24:25], v[152:153]
	v_mul_f64_e32 v[104:105], s[16:17], v[104:105]
	v_mul_f64_e32 v[106:107], s[16:17], v[106:107]
	;; [unrolled: 1-line block ×4, first 2 shown]
	v_add_f64_e32 v[64:65], v[66:67], v[64:65]
	v_add_f64_e32 v[48:49], v[50:51], v[48:49]
	v_fma_f64 v[50:51], v[76:77], s[8:9], v[90:91]
	v_fma_f64 v[90:91], v[62:63], s[34:35], v[156:157]
	v_fma_f64 v[156:157], v[62:63], s[34:35], -v[156:157]
	v_fma_f64 v[62:63], v[62:63], s[14:15], -v[82:83]
	;; [unrolled: 1-line block ×3, first 2 shown]
	v_fma_f64 v[76:77], v[76:77], s[14:15], v[94:95]
	v_add_f64_e32 v[94:95], v[44:45], v[206:207]
	v_add_f64_e32 v[206:207], v[40:41], v[212:213]
	;; [unrolled: 1-line block ×9, first 2 shown]
	v_fma_f64 v[66:67], v[98:99], s[14:15], v[154:155]
	v_fma_f64 v[154:155], v[98:99], s[14:15], -v[154:155]
	v_fma_f64 v[86:87], v[98:99], s[34:35], -v[164:165]
	v_add_f64_e32 v[124:125], v[124:125], v[126:127]
	v_add_f64_e32 v[100:101], v[138:139], v[100:101]
	v_add_f64_e32 v[138:139], v[150:151], v[142:143]
	v_add_f64_e32 v[142:143], v[168:169], v[148:149]
	v_add_f64_e32 v[148:149], v[160:161], v[162:163]
	v_add_f64_e32 v[150:151], v[236:237], v[228:229]
	v_add_f64_e32 v[160:161], v[240:241], v[166:167]
	v_add_f64_e32 v[162:163], v[242:243], v[220:221]
	v_mul_f64_e32 v[198:199], s[16:17], v[108:109]
	v_mul_f64_e32 v[202:203], s[22:23], v[108:109]
	;; [unrolled: 1-line block ×3, first 2 shown]
	v_fma_f64 v[244:245], v[116:117], s[34:35], -v[180:181]
	v_fma_f64 v[168:169], v[114:115], s[8:9], -v[186:187]
	;; [unrolled: 1-line block ×3, first 2 shown]
	v_fma_f64 v[232:233], v[114:115], s[34:35], v[178:179]
	v_fma_f64 v[178:179], v[114:115], s[34:35], -v[178:179]
	v_fma_f64 v[180:181], v[116:117], s[34:35], v[180:181]
	v_fma_f64 v[176:177], v[116:117], s[14:15], v[176:177]
	v_add_f64_e32 v[64:65], v[68:69], v[64:65]
	v_add_f64_e32 v[48:49], v[52:53], v[48:49]
	v_fma_f64 v[52:53], v[98:99], s[34:35], v[164:165]
	v_fma_f64 v[164:165], v[102:103], s[34:35], v[170:171]
	v_add_f64_e32 v[90:91], v[90:91], v[216:217]
	v_fma_f64 v[68:69], v[102:103], s[34:35], -v[170:171]
	v_fma_f64 v[170:171], v[98:99], s[8:9], v[80:81]
	v_fma_f64 v[80:81], v[98:99], s[8:9], -v[80:81]
	v_add_f64_e32 v[94:95], v[110:111], v[94:95]
	v_add_f64_e32 v[110:111], v[210:211], v[206:207]
	;; [unrolled: 1-line block ×8, first 2 shown]
	v_fma_f64 v[98:99], v[102:103], s[8:9], -v[92:93]
	v_fma_f64 v[92:93], v[102:103], s[8:9], v[92:93]
	v_add_f64_e32 v[44:45], v[62:63], v[44:45]
	v_add_f64_e32 v[62:63], v[76:77], v[84:85]
	;; [unrolled: 1-line block ×3, first 2 shown]
	v_fma_f64 v[102:103], v[114:115], s[14:15], v[174:175]
	v_fma_f64 v[76:77], v[114:115], s[24:25], -v[182:183]
	v_fma_f64 v[172:173], v[116:117], s[8:9], v[188:189]
	v_add_f64_e32 v[86:87], v[86:87], v[142:143]
	v_fma_f64 v[82:83], v[116:117], s[24:25], v[184:185]
	v_add_f64_e32 v[100:101], v[128:129], v[100:101]
	v_add_f64_e32 v[128:129], v[158:159], v[148:149]
	v_fma_f64 v[174:175], v[114:115], s[14:15], -v[174:175]
	v_fma_f64 v[84:85], v[114:115], s[8:9], v[186:187]
	v_fma_f64 v[166:167], v[116:117], s[8:9], -v[188:189]
	v_fma_f64 v[186:187], v[118:119], s[8:9], -v[190:191]
	;; [unrolled: 1-line block ×3, first 2 shown]
	v_fma_f64 v[188:189], v[120:121], s[8:9], v[192:193]
	v_fma_f64 v[148:149], v[120:121], s[24:25], -v[204:205]
	v_add_f64_e32 v[64:65], v[70:71], v[64:65]
	v_add_f64_e32 v[48:49], v[54:55], v[48:49]
	v_fma_f64 v[54:55], v[114:115], s[24:25], v[182:183]
	v_fma_f64 v[70:71], v[116:117], s[24:25], -v[184:185]
	v_add_f64_e32 v[66:67], v[66:67], v[90:91]
	v_add_f64_e32 v[68:69], v[68:69], v[160:161]
	v_fma_f64 v[182:183], v[114:115], s[18:19], v[104:105]
	v_fma_f64 v[104:105], v[114:115], s[18:19], -v[104:105]
	v_add_f64_e32 v[78:79], v[78:79], v[94:95]
	v_add_f64_e32 v[94:95], v[208:209], v[110:111]
	v_add_f64_e32 v[110:111], v[122:123], v[124:125]
	v_add_f64_e32 v[122:123], v[140:141], v[126:127]
	;; [unrolled: 1-line block ×9, first 2 shown]
	v_fma_f64 v[114:115], v[116:117], s[18:19], -v[106:107]
	v_fma_f64 v[106:107], v[116:117], s[18:19], v[106:107]
	v_add_f64_e32 v[44:45], v[80:81], v[44:45]
	v_add_f64_e32 v[62:63], v[92:93], v[62:63]
	;; [unrolled: 1-line block ×4, first 2 shown]
	v_fma_f64 v[116:117], v[118:119], s[8:9], v[190:191]
	v_fma_f64 v[80:81], v[118:119], s[14:15], -v[194:195]
	v_fma_f64 v[98:99], v[118:119], s[18:19], v[198:199]
	v_fma_f64 v[146:147], v[118:119], s[24:25], v[202:203]
	v_fma_f64 v[150:151], v[118:119], s[24:25], -v[202:203]
	v_fma_f64 v[152:153], v[120:121], s[24:25], v[204:205]
	v_fma_f64 v[154:155], v[118:119], s[34:35], v[108:109]
	v_fma_f64 v[156:157], v[120:121], s[34:35], -v[72:73]
	v_fma_f64 v[108:109], v[118:119], s[34:35], -v[108:109]
	v_add_f64_e32 v[86:87], v[168:169], v[86:87]
	v_fma_f64 v[144:145], v[120:121], s[18:19], v[200:201]
	v_add_f64_e32 v[82:83], v[82:83], v[128:129]
	v_fma_f64 v[184:185], v[120:121], s[8:9], -v[192:193]
	v_add_f64_e32 v[64:65], v[74:75], v[64:65]
	v_add_f64_e32 v[48:49], v[60:61], v[48:49]
	v_fma_f64 v[60:61], v[118:119], s[14:15], v[194:195]
	v_fma_f64 v[74:75], v[120:121], s[14:15], -v[196:197]
	v_fma_f64 v[118:119], v[120:121], s[34:35], v[72:73]
	v_fma_f64 v[92:93], v[120:121], s[14:15], v[196:197]
	v_fma_f64 v[140:141], v[120:121], s[18:19], -v[200:201]
	v_add_f64_e32 v[100:101], v[176:177], v[100:101]
	v_add_f64_e32 v[72:73], v[102:103], v[78:79]
	;; [unrolled: 1-line block ×18, first 2 shown]
	v_mul_lo_u32 v50, s2, v135
	v_mad_co_u64_u32 v[114:115], null, s2, v134, 0
	v_add_f64_e32 v[68:69], v[144:145], v[82:83]
	v_add_f64_e32 v[106:107], v[58:59], v[64:65]
	;; [unrolled: 1-line block ×3, first 2 shown]
	v_lshrrev_b32_e32 v48, 2, v136
	v_mul_lo_u32 v49, s3, v134
	v_add_f64_e32 v[52:53], v[188:189], v[100:101]
	s_delay_alu instid0(VALU_DEP_3) | instskip(SKIP_1) | instid1(VALU_DEP_4)
	v_mul_hi_u32 v48, 0x30c30c31, v48
	v_add_f64_e32 v[54:55], v[186:187], v[94:95]
	v_add3_u32 v115, v115, v50, v49
	v_add_f64_e32 v[50:51], v[116:117], v[72:73]
	v_add_f64_e32 v[56:57], v[74:75], v[96:97]
	;; [unrolled: 1-line block ×8, first 2 shown]
	v_lshrrev_b32_e32 v130, 2, v48
	v_add_f64_e32 v[48:49], v[184:185], v[78:79]
	v_add_f64_e32 v[66:67], v[98:99], v[66:67]
	;; [unrolled: 1-line block ×9, first 2 shown]
	v_mul_lo_u32 v44, 0x54, v130
	v_lshlrev_b64_e32 v[40:41], 4, v[114:115]
	s_delay_alu instid0(VALU_DEP_1)
	v_add_co_u32 v40, vcc_lo, s10, v40
	v_add_f64_e32 v[92:93], v[46:47], v[106:107]
	v_add_f64_e32 v[90:91], v[42:43], v[128:129]
	v_lshlrev_b64_e32 v[42:43], 4, v[132:133]
	v_sub_nc_u32_e32 v44, v136, v44
	s_wait_alu 0xfffd
	v_add_co_ci_u32_e32 v41, vcc_lo, s11, v41, vcc_lo
	s_delay_alu instid0(VALU_DEP_2) | instskip(NEXT) | instid1(VALU_DEP_4)
	v_lshlrev_b32_e32 v46, 4, v44
	v_add_co_u32 v44, vcc_lo, v40, v42
	s_wait_alu 0xfffd
	s_delay_alu instid0(VALU_DEP_3) | instskip(SKIP_1) | instid1(VALU_DEP_3)
	v_add_co_ci_u32_e32 v45, vcc_lo, v41, v43, vcc_lo
	v_add_nc_u32_e32 v42, 44, v136
	v_add_co_u32 v40, vcc_lo, v44, v46
	s_wait_alu 0xfffd
	s_delay_alu instid0(VALU_DEP_3) | instskip(NEXT) | instid1(VALU_DEP_3)
	v_add_co_ci_u32_e32 v41, vcc_lo, 0, v45, vcc_lo
	v_cmp_gt_u32_e32 vcc_lo, 0x54, v42
	s_clause 0xa
	global_store_b128 v[40:41], v[72:75], off offset:2688
	global_store_b128 v[40:41], v[68:71], off offset:4032
	;; [unrolled: 1-line block ×9, first 2 shown]
	global_store_b128 v[40:41], v[90:93], off
	global_store_b128 v[40:41], v[80:83], off offset:13440
	s_and_b32 exec_lo, exec_lo, vcc_lo
	s_cbranch_execz .LBB0_34
; %bb.33:
	v_subrev_nc_u32_e32 v40, 40, v136
	v_mov_b32_e32 v41, 0
	s_mov_b32 s1, 0x3fe82f19
	s_delay_alu instid0(VALU_DEP_2) | instskip(SKIP_1) | instid1(VALU_DEP_1)
	v_cndmask_b32_e64 v40, v40, v137, s0
	s_mov_b32 s0, s16
	v_mul_i32_i24_e32 v40, 10, v40
	s_delay_alu instid0(VALU_DEP_1) | instskip(SKIP_1) | instid1(VALU_DEP_2)
	v_lshlrev_b64_e32 v[46:47], 4, v[40:41]
	v_dual_mov_b32 v43, v41 :: v_dual_add_nc_u32 v40, 0x80, v136
	v_add_co_u32 v82, vcc_lo, s4, v46
	s_wait_alu 0xfffd
	s_delay_alu instid0(VALU_DEP_3)
	v_add_co_ci_u32_e32 v83, vcc_lo, s5, v47, vcc_lo
	s_clause 0x9
	global_load_b128 v[46:49], v[82:83], off offset:1312
	global_load_b128 v[50:53], v[82:83], off offset:1456
	;; [unrolled: 1-line block ×10, first 2 shown]
	s_wait_loadcnt 0x9
	v_mul_f64_e32 v[86:87], v[22:23], v[48:49]
	v_mul_f64_e32 v[48:49], v[2:3], v[48:49]
	s_wait_loadcnt 0x7
	v_mul_f64_e32 v[92:93], v[4:5], v[56:57]
	s_wait_loadcnt 0x6
	v_mul_f64_e32 v[94:95], v[18:19], v[60:61]
	v_mul_f64_e32 v[56:57], v[24:25], v[56:57]
	;; [unrolled: 1-line block ×3, first 2 shown]
	s_wait_loadcnt 0x4
	v_mul_f64_e32 v[96:97], v[16:17], v[68:69]
	v_mul_f64_e32 v[60:61], v[38:39], v[60:61]
	;; [unrolled: 1-line block ×4, first 2 shown]
	s_wait_loadcnt 0x1
	v_mul_f64_e32 v[102:103], v[30:31], v[80:81]
	v_mul_f64_e32 v[80:81], v[10:11], v[80:81]
	s_wait_loadcnt 0x0
	v_mul_f64_e32 v[104:105], v[32:33], v[84:85]
	v_mul_f64_e32 v[84:85], v[12:13], v[84:85]
	;; [unrolled: 1-line block ×6, first 2 shown]
	v_fma_f64 v[86:87], v[2:3], v[46:47], v[86:87]
	v_fma_f64 v[46:47], v[22:23], v[46:47], -v[48:49]
	v_mul_f64_e32 v[48:49], v[6:7], v[64:65]
	v_mul_f64_e32 v[64:65], v[26:27], v[64:65]
	v_fma_f64 v[24:25], v[24:25], v[54:55], -v[92:93]
	v_fma_f64 v[22:23], v[38:39], v[58:59], -v[94:95]
	v_fma_f64 v[4:5], v[4:5], v[54:55], v[56:57]
	v_fma_f64 v[2:3], v[88:89], v[50:51], -v[90:91]
	v_fma_f64 v[18:19], v[18:19], v[58:59], v[60:61]
	v_fma_f64 v[16:17], v[16:17], v[66:67], v[68:69]
	v_fma_f64 v[36:37], v[36:37], v[66:67], -v[96:97]
	v_fma_f64 v[30:31], v[30:31], v[78:79], -v[80:81]
	v_fma_f64 v[10:11], v[10:11], v[78:79], v[102:103]
	v_fma_f64 v[32:33], v[32:33], v[82:83], -v[84:85]
	v_fma_f64 v[8:9], v[8:9], v[70:71], v[98:99]
	;; [unrolled: 2-line block ×4, first 2 shown]
	v_lshlrev_b64_e32 v[56:57], 4, v[40:41]
	v_add_nc_u32_e32 v40, 0xd4, v136
	v_lshlrev_b64_e32 v[42:43], 4, v[42:43]
	s_delay_alu instid0(VALU_DEP_1) | instskip(SKIP_1) | instid1(VALU_DEP_2)
	v_add_co_u32 v42, vcc_lo, v44, v42
	s_wait_alu 0xfffd
	v_add_co_ci_u32_e32 v43, vcc_lo, v45, v43, vcc_lo
	v_add_co_u32 v56, vcc_lo, v44, v56
	s_wait_alu 0xfffd
	v_add_co_ci_u32_e32 v57, vcc_lo, v45, v57, vcc_lo
	v_add_f64_e32 v[38:39], v[0:1], v[86:87]
	v_add_f64_e32 v[54:55], v[20:21], v[46:47]
	v_fma_f64 v[26:27], v[26:27], v[62:63], -v[48:49]
	v_fma_f64 v[6:7], v[6:7], v[62:63], v[64:65]
	v_fma_f64 v[48:49], v[112:113], v[50:51], v[52:53]
	v_add_f64_e64 v[58:59], v[24:25], -v[22:23]
	v_add_f64_e32 v[60:61], v[24:25], v[22:23]
	v_add_f64_e32 v[50:51], v[46:47], v[2:3]
	v_add_f64_e64 v[46:47], v[46:47], -v[2:3]
	v_add_f64_e32 v[72:73], v[4:5], v[18:19]
	v_lshlrev_b64_e32 v[52:53], 4, v[40:41]
	v_add_nc_u32_e32 v40, 0x128, v136
	v_add_f64_e32 v[88:89], v[30:31], v[32:33]
	v_add_f64_e64 v[92:93], v[30:31], -v[32:33]
	v_add_f64_e32 v[78:79], v[8:9], v[14:15]
	v_add_f64_e64 v[84:85], v[8:9], -v[14:15]
	;; [unrolled: 2-line block ×3, first 2 shown]
	v_add_f64_e64 v[90:91], v[10:11], -v[12:13]
	v_add_co_u32 v52, vcc_lo, v44, v52
	s_wait_alu 0xfffd
	v_add_co_ci_u32_e32 v53, vcc_lo, v45, v53, vcc_lo
	v_add_f64_e32 v[38:39], v[38:39], v[4:5]
	v_add_f64_e32 v[24:25], v[54:55], v[24:25]
	v_add_f64_e64 v[64:65], v[26:27], -v[36:37]
	v_add_f64_e32 v[74:75], v[6:7], v[16:17]
	v_add_f64_e64 v[76:77], v[6:7], -v[16:17]
	;; [unrolled: 2-line block ×3, first 2 shown]
	v_mul_f64_e32 v[96:97], s[24:25], v[50:51]
	v_mul_f64_e32 v[94:95], s[28:29], v[46:47]
	;; [unrolled: 1-line block ×10, first 2 shown]
	v_add_f64_e32 v[66:67], v[26:27], v[36:37]
	v_add_f64_e64 v[4:5], v[4:5], -v[18:19]
	v_mul_f64_e32 v[110:111], s[26:27], v[58:59]
	v_mul_f64_e32 v[112:113], s[14:15], v[60:61]
	;; [unrolled: 1-line block ×14, first 2 shown]
	v_add_f64_e32 v[86:87], v[10:11], v[12:13]
	v_mul_f64_e32 v[139:140], s[16:17], v[82:83]
	v_mul_f64_e32 v[141:142], s[18:19], v[80:81]
	;; [unrolled: 1-line block ×4, first 2 shown]
	v_add_f64_e32 v[6:7], v[38:39], v[6:7]
	v_add_f64_e32 v[24:25], v[24:25], v[26:27]
	v_mul_f64_e32 v[26:27], s[16:17], v[58:59]
	v_mul_f64_e32 v[38:39], s[18:19], v[60:61]
	;; [unrolled: 1-line block ×7, first 2 shown]
	v_fma_f64 v[171:172], v[68:69], s[14:15], v[98:99]
	v_fma_f64 v[173:174], v[70:71], s[12:13], v[100:101]
	v_fma_f64 v[98:99], v[68:69], s[14:15], -v[98:99]
	v_fma_f64 v[100:101], v[70:71], s[26:27], v[100:101]
	v_fma_f64 v[175:176], v[68:69], s[8:9], v[102:103]
	;; [unrolled: 1-line block ×3, first 2 shown]
	v_fma_f64 v[102:103], v[68:69], s[8:9], -v[102:103]
	v_fma_f64 v[179:180], v[68:69], s[18:19], v[106:107]
	s_wait_alu 0xfffe
	v_fma_f64 v[181:182], v[70:71], s[0:1], v[108:109]
	v_fma_f64 v[106:107], v[68:69], s[18:19], -v[106:107]
	v_fma_f64 v[183:184], v[68:69], s[34:35], v[46:47]
	v_fma_f64 v[185:186], v[70:71], s[36:37], v[50:51]
	v_fma_f64 v[46:47], v[68:69], s[34:35], -v[46:47]
	v_fma_f64 v[50:51], v[70:71], s[30:31], v[50:51]
	v_fma_f64 v[108:109], v[70:71], s[16:17], v[108:109]
	;; [unrolled: 1-line block ×3, first 2 shown]
	v_mul_f64_e32 v[124:125], s[8:9], v[66:67]
	v_mul_f64_e32 v[128:129], s[34:35], v[66:67]
	;; [unrolled: 1-line block ×4, first 2 shown]
	v_fma_f64 v[191:192], v[72:73], s[34:35], v[114:115]
	v_fma_f64 v[193:194], v[4:5], s[30:31], v[116:117]
	v_mul_f64_e32 v[137:138], s[24:25], v[66:67]
	v_fma_f64 v[114:115], v[72:73], s[34:35], -v[114:115]
	v_fma_f64 v[195:196], v[72:73], s[8:9], v[118:119]
	v_fma_f64 v[197:198], v[4:5], s[6:7], v[120:121]
	v_mul_f64_e32 v[64:65], s[16:17], v[64:65]
	v_mul_f64_e32 v[66:67], s[18:19], v[66:67]
	v_fma_f64 v[116:117], v[4:5], s[36:37], v[116:117]
	v_add_f64_e32 v[6:7], v[6:7], v[8:9]
	v_add_f64_e32 v[8:9], v[24:25], v[28:29]
	v_mul_f64_e32 v[24:25], s[6:7], v[92:93]
	v_mul_f64_e32 v[28:29], s[8:9], v[88:89]
	v_fma_f64 v[88:89], v[68:69], s[24:25], v[94:95]
	v_fma_f64 v[92:93], v[70:71], s[22:23], v[96:97]
	v_fma_f64 v[94:95], v[68:69], s[24:25], -v[94:95]
	v_fma_f64 v[96:97], v[70:71], s[28:29], v[96:97]
	v_fma_f64 v[68:69], v[72:73], s[14:15], v[110:111]
	;; [unrolled: 1-line block ×5, first 2 shown]
	v_add_f64_e32 v[171:172], v[0:1], v[171:172]
	v_add_f64_e32 v[173:174], v[20:21], v[173:174]
	v_fma_f64 v[26:27], v[72:73], s[18:19], -v[26:27]
	v_fma_f64 v[38:39], v[4:5], s[16:17], v[38:39]
	v_add_f64_e32 v[98:99], v[0:1], v[98:99]
	v_add_f64_e32 v[100:101], v[20:21], v[100:101]
	;; [unrolled: 1-line block ×10, first 2 shown]
	v_fma_f64 v[112:113], v[4:5], s[26:27], v[112:113]
	v_add_f64_e32 v[46:47], v[0:1], v[46:47]
	v_add_f64_e32 v[50:51], v[20:21], v[50:51]
	;; [unrolled: 1-line block ×4, first 2 shown]
	v_fma_f64 v[110:111], v[72:73], s[14:15], -v[110:111]
	v_fma_f64 v[199:200], v[74:75], s[34:35], v[126:127]
	v_fma_f64 v[201:202], v[76:77], s[30:31], v[128:129]
	v_mul_f64_e32 v[147:148], s[28:29], v[82:83]
	v_mul_f64_e32 v[149:150], s[24:25], v[80:81]
	v_fma_f64 v[203:204], v[74:75], s[14:15], v[130:131]
	v_fma_f64 v[205:206], v[76:77], s[26:27], v[132:133]
	v_add_f64_e32 v[6:7], v[6:7], v[10:11]
	v_add_f64_e32 v[8:9], v[8:9], v[30:31]
	v_fma_f64 v[10:11], v[72:73], s[8:9], -v[118:119]
	v_fma_f64 v[30:31], v[4:5], s[20:21], v[120:121]
	v_add_f64_e32 v[88:89], v[0:1], v[88:89]
	v_add_f64_e32 v[92:93], v[20:21], v[92:93]
	v_fma_f64 v[118:119], v[72:73], s[24:25], v[58:59]
	v_fma_f64 v[120:121], v[4:5], s[28:29], v[60:61]
	v_fma_f64 v[58:59], v[72:73], s[24:25], -v[58:59]
	v_fma_f64 v[4:5], v[4:5], s[22:23], v[60:61]
	v_add_f64_e32 v[0:1], v[0:1], v[94:95]
	v_fma_f64 v[60:61], v[74:75], s[8:9], v[122:123]
	v_fma_f64 v[72:73], v[76:77], s[20:21], v[124:125]
	v_mul_f64_e32 v[151:152], s[30:31], v[82:83]
	v_mul_f64_e32 v[153:154], s[34:35], v[80:81]
	v_fma_f64 v[126:127], v[74:75], s[34:35], -v[126:127]
	v_add_f64_e32 v[26:27], v[26:27], v[98:99]
	v_add_f64_e32 v[38:39], v[38:39], v[100:101]
	;; [unrolled: 1-line block ×6, first 2 shown]
	v_mul_f64_e32 v[82:83], s[12:13], v[82:83]
	v_mul_f64_e32 v[80:81], s[14:15], v[80:81]
	v_fma_f64 v[94:95], v[74:75], s[24:25], -v[134:135]
	v_fma_f64 v[128:129], v[76:77], s[36:37], v[128:129]
	v_fma_f64 v[130:131], v[74:75], s[14:15], -v[130:131]
	v_fma_f64 v[132:133], v[76:77], s[12:13], v[132:133]
	;; [unrolled: 2-line block ×3, first 2 shown]
	v_fma_f64 v[207:208], v[78:79], s[8:9], v[143:144]
	v_fma_f64 v[209:210], v[84:85], s[6:7], v[145:146]
	v_fma_f64 v[143:144], v[78:79], s[8:9], -v[143:144]
	v_fma_f64 v[145:146], v[84:85], s[20:21], v[145:146]
	v_lshlrev_b64_e32 v[54:55], 4, v[40:41]
	v_add_nc_u32_e32 v40, 0x17c, v136
	v_add_f64_e32 v[6:7], v[6:7], v[12:13]
	v_add_f64_e32 v[8:9], v[8:9], v[32:33]
	;; [unrolled: 1-line block ×3, first 2 shown]
	v_fma_f64 v[20:21], v[74:75], s[24:25], v[134:135]
	v_add_f64_e32 v[68:69], v[68:69], v[88:89]
	v_add_f64_e32 v[70:71], v[70:71], v[92:93]
	v_add_f64_e32 v[88:89], v[187:188], v[171:172]
	v_add_f64_e32 v[92:93], v[189:190], v[173:174]
	v_fma_f64 v[32:33], v[76:77], s[22:23], v[137:138]
	v_add_f64_e32 v[171:172], v[197:198], v[181:182]
	v_fma_f64 v[96:97], v[76:77], s[28:29], v[137:138]
	v_fma_f64 v[134:135], v[74:75], s[18:19], v[64:65]
	;; [unrolled: 1-line block ×3, first 2 shown]
	v_add_f64_e32 v[10:11], v[10:11], v[106:107]
	v_add_f64_e32 v[106:107], v[118:119], v[183:184]
	;; [unrolled: 1-line block ×3, first 2 shown]
	v_fma_f64 v[64:65], v[74:75], s[18:19], -v[64:65]
	v_fma_f64 v[66:67], v[76:77], s[16:17], v[66:67]
	v_add_f64_e32 v[46:47], v[58:59], v[46:47]
	v_add_f64_e32 v[4:5], v[4:5], v[50:51]
	;; [unrolled: 1-line block ×5, first 2 shown]
	v_fma_f64 v[74:75], v[78:79], s[18:19], v[139:140]
	v_fma_f64 v[76:77], v[84:85], s[0:1], v[141:142]
	;; [unrolled: 1-line block ×4, first 2 shown]
	v_add_f64_e32 v[26:27], v[126:127], v[26:27]
	v_fma_f64 v[58:59], v[78:79], s[24:25], -v[147:148]
	v_fma_f64 v[120:121], v[78:79], s[14:15], v[82:83]
	v_fma_f64 v[139:140], v[78:79], s[18:19], -v[139:140]
	v_add_f64_e32 v[38:39], v[128:129], v[38:39]
	v_fma_f64 v[116:117], v[84:85], s[30:31], v[153:154]
	v_fma_f64 v[104:105], v[84:85], s[28:29], v[149:150]
	;; [unrolled: 1-line block ×5, first 2 shown]
	v_lshlrev_b64_e32 v[62:63], 4, v[40:41]
	v_add_f64_e32 v[6:7], v[6:7], v[14:15]
	v_add_f64_e32 v[8:9], v[8:9], v[34:35]
	v_add_f64_e32 v[12:13], v[112:113], v[12:13]
	v_fma_f64 v[14:15], v[78:79], s[24:25], v[147:148]
	v_add_f64_e32 v[60:61], v[60:61], v[68:69]
	v_add_f64_e32 v[68:69], v[72:73], v[70:71]
	v_add_f64_e32 v[70:71], v[199:200], v[88:89]
	v_add_f64_e32 v[72:73], v[201:202], v[92:93]
	v_fma_f64 v[34:35], v[84:85], s[22:23], v[149:150]
	v_add_f64_e32 v[88:89], v[203:204], v[98:99]
	;; [unrolled: 5-line block ×3, first 2 shown]
	v_add_f64_e32 v[94:95], v[134:135], v[106:107]
	v_add_f64_e32 v[100:101], v[137:138], v[118:119]
	v_fma_f64 v[112:113], v[78:79], s[34:35], -v[151:152]
	v_fma_f64 v[78:79], v[78:79], s[14:15], -v[82:83]
	v_fma_f64 v[80:81], v[84:85], s[12:13], v[80:81]
	v_add_f64_e32 v[46:47], v[64:65], v[46:47]
	v_add_f64_e32 v[4:5], v[66:67], v[4:5]
	;; [unrolled: 1-line block ×6, first 2 shown]
	v_fma_f64 v[82:83], v[86:87], s[34:35], v[155:156]
	v_fma_f64 v[84:85], v[90:91], s[36:37], v[157:158]
	v_fma_f64 v[149:150], v[86:87], s[34:35], -v[155:156]
	v_fma_f64 v[151:152], v[90:91], s[30:31], v[157:158]
	v_fma_f64 v[64:65], v[86:87], s[24:25], -v[159:160]
	v_fma_f64 v[66:67], v[90:91], s[22:23], v[161:162]
	v_fma_f64 v[96:97], v[86:87], s[18:19], v[163:164]
	;; [unrolled: 1-line block ×3, first 2 shown]
	v_fma_f64 v[106:107], v[86:87], s[18:19], -v[163:164]
	v_fma_f64 v[114:115], v[90:91], s[16:17], v[165:166]
	v_fma_f64 v[118:119], v[86:87], s[14:15], v[167:168]
	;; [unrolled: 1-line block ×3, first 2 shown]
	v_add_f64_e32 v[6:7], v[6:7], v[16:17]
	v_add_f64_e32 v[8:9], v[8:9], v[36:37]
	;; [unrolled: 1-line block ×3, first 2 shown]
	v_fma_f64 v[16:17], v[86:87], s[24:25], v[159:160]
	v_fma_f64 v[36:37], v[90:91], s[28:29], v[161:162]
	v_fma_f64 v[124:125], v[86:87], s[14:15], -v[167:168]
	v_fma_f64 v[130:131], v[90:91], s[20:21], v[28:29]
	v_fma_f64 v[86:87], v[86:87], s[8:9], -v[24:25]
	v_fma_f64 v[90:91], v[90:91], s[6:7], v[28:29]
	v_add_f64_e32 v[24:25], v[74:75], v[60:61]
	v_add_f64_e32 v[28:29], v[76:77], v[68:69]
	;; [unrolled: 1-line block ×19, first 2 shown]
	v_add_nc_u32_e32 v40, 0x1d0, v136
	v_add_co_u32 v54, vcc_lo, v44, v54
	s_wait_alu 0xfffd
	v_add_co_ci_u32_e32 v55, vcc_lo, v45, v55, vcc_lo
	s_delay_alu instid0(VALU_DEP_3)
	v_lshlrev_b64_e32 v[0:1], 4, v[40:41]
	v_add_co_u32 v62, vcc_lo, v44, v62
	v_add_nc_u32_e32 v40, 0x224, v136
	s_wait_alu 0xfffd
	v_add_co_ci_u32_e32 v63, vcc_lo, v45, v63, vcc_lo
	v_add_f64_e32 v[80:81], v[6:7], v[18:19]
	v_add_f64_e32 v[92:93], v[8:9], v[22:23]
	;; [unrolled: 1-line block ×3, first 2 shown]
	v_add_co_u32 v104, vcc_lo, v44, v0
	s_wait_alu 0xfffd
	v_add_co_ci_u32_e32 v105, vcc_lo, v45, v1, vcc_lo
	v_lshlrev_b64_e32 v[100:101], 4, v[40:41]
	v_add_f64_e32 v[4:5], v[82:83], v[24:25]
	v_add_f64_e32 v[6:7], v[84:85], v[28:29]
	;; [unrolled: 1-line block ×18, first 2 shown]
	v_add_nc_u32_e32 v40, 0x278, v136
	v_add_f64_e32 v[46:47], v[149:150], v[94:95]
	v_add_co_u32 v58, vcc_lo, v44, v100
	s_wait_alu 0xfffd
	v_add_co_ci_u32_e32 v59, vcc_lo, v45, v101, vcc_lo
	v_lshlrev_b64_e32 v[50:51], 4, v[40:41]
	v_add_nc_u32_e32 v40, 0x2cc, v136
	s_delay_alu instid0(VALU_DEP_1)
	v_lshlrev_b64_e32 v[60:61], 4, v[40:41]
	v_add_f64_e32 v[0:1], v[80:81], v[48:49]
	v_add_f64_e32 v[2:3], v[92:93], v[2:3]
	;; [unrolled: 1-line block ×3, first 2 shown]
	v_add_nc_u32_e32 v40, 0x320, v136
	v_add_co_u32 v50, vcc_lo, v44, v50
	s_wait_alu 0xfffd
	v_add_co_ci_u32_e32 v51, vcc_lo, v45, v51, vcc_lo
	s_delay_alu instid0(VALU_DEP_3) | instskip(SKIP_4) | instid1(VALU_DEP_3)
	v_lshlrev_b64_e32 v[64:65], 4, v[40:41]
	v_add_nc_u32_e32 v40, 0x374, v136
	v_add_co_u32 v60, vcc_lo, v44, v60
	s_wait_alu 0xfffd
	v_add_co_ci_u32_e32 v61, vcc_lo, v45, v61, vcc_lo
	v_lshlrev_b64_e32 v[40:41], 4, v[40:41]
	v_add_co_u32 v64, vcc_lo, v44, v64
	s_wait_alu 0xfffd
	v_add_co_ci_u32_e32 v65, vcc_lo, v45, v65, vcc_lo
	s_delay_alu instid0(VALU_DEP_3)
	v_add_co_u32 v40, vcc_lo, v44, v40
	s_wait_alu 0xfffd
	v_add_co_ci_u32_e32 v41, vcc_lo, v45, v41, vcc_lo
	s_clause 0xa
	global_store_b128 v[52:53], v[8:11], off
	global_store_b128 v[54:55], v[16:19], off
	;; [unrolled: 1-line block ×11, first 2 shown]
.LBB0_34:
	s_nop 0
	s_sendmsg sendmsg(MSG_DEALLOC_VGPRS)
	s_endpgm
	.section	.rodata,"a",@progbits
	.p2align	6, 0x0
	.amdhsa_kernel fft_rtc_back_len924_factors_2_2_3_7_11_wgs_44_tpt_44_halfLds_dp_op_CI_CI_unitstride_sbrr_dirReg
		.amdhsa_group_segment_fixed_size 0
		.amdhsa_private_segment_fixed_size 0
		.amdhsa_kernarg_size 104
		.amdhsa_user_sgpr_count 2
		.amdhsa_user_sgpr_dispatch_ptr 0
		.amdhsa_user_sgpr_queue_ptr 0
		.amdhsa_user_sgpr_kernarg_segment_ptr 1
		.amdhsa_user_sgpr_dispatch_id 0
		.amdhsa_user_sgpr_private_segment_size 0
		.amdhsa_wavefront_size32 1
		.amdhsa_uses_dynamic_stack 0
		.amdhsa_enable_private_segment 0
		.amdhsa_system_sgpr_workgroup_id_x 1
		.amdhsa_system_sgpr_workgroup_id_y 0
		.amdhsa_system_sgpr_workgroup_id_z 0
		.amdhsa_system_sgpr_workgroup_info 0
		.amdhsa_system_vgpr_workitem_id 0
		.amdhsa_next_free_vgpr 246
		.amdhsa_next_free_sgpr 39
		.amdhsa_reserve_vcc 1
		.amdhsa_float_round_mode_32 0
		.amdhsa_float_round_mode_16_64 0
		.amdhsa_float_denorm_mode_32 3
		.amdhsa_float_denorm_mode_16_64 3
		.amdhsa_fp16_overflow 0
		.amdhsa_workgroup_processor_mode 1
		.amdhsa_memory_ordered 1
		.amdhsa_forward_progress 0
		.amdhsa_round_robin_scheduling 0
		.amdhsa_exception_fp_ieee_invalid_op 0
		.amdhsa_exception_fp_denorm_src 0
		.amdhsa_exception_fp_ieee_div_zero 0
		.amdhsa_exception_fp_ieee_overflow 0
		.amdhsa_exception_fp_ieee_underflow 0
		.amdhsa_exception_fp_ieee_inexact 0
		.amdhsa_exception_int_div_zero 0
	.end_amdhsa_kernel
	.text
.Lfunc_end0:
	.size	fft_rtc_back_len924_factors_2_2_3_7_11_wgs_44_tpt_44_halfLds_dp_op_CI_CI_unitstride_sbrr_dirReg, .Lfunc_end0-fft_rtc_back_len924_factors_2_2_3_7_11_wgs_44_tpt_44_halfLds_dp_op_CI_CI_unitstride_sbrr_dirReg
                                        ; -- End function
	.section	.AMDGPU.csdata,"",@progbits
; Kernel info:
; codeLenInByte = 14452
; NumSgprs: 41
; NumVgprs: 246
; ScratchSize: 0
; MemoryBound: 1
; FloatMode: 240
; IeeeMode: 1
; LDSByteSize: 0 bytes/workgroup (compile time only)
; SGPRBlocks: 5
; VGPRBlocks: 30
; NumSGPRsForWavesPerEU: 41
; NumVGPRsForWavesPerEU: 246
; Occupancy: 5
; WaveLimiterHint : 1
; COMPUTE_PGM_RSRC2:SCRATCH_EN: 0
; COMPUTE_PGM_RSRC2:USER_SGPR: 2
; COMPUTE_PGM_RSRC2:TRAP_HANDLER: 0
; COMPUTE_PGM_RSRC2:TGID_X_EN: 1
; COMPUTE_PGM_RSRC2:TGID_Y_EN: 0
; COMPUTE_PGM_RSRC2:TGID_Z_EN: 0
; COMPUTE_PGM_RSRC2:TIDIG_COMP_CNT: 0
	.text
	.p2alignl 7, 3214868480
	.fill 96, 4, 3214868480
	.type	__hip_cuid_9f3ade404240ef2a,@object ; @__hip_cuid_9f3ade404240ef2a
	.section	.bss,"aw",@nobits
	.globl	__hip_cuid_9f3ade404240ef2a
__hip_cuid_9f3ade404240ef2a:
	.byte	0                               ; 0x0
	.size	__hip_cuid_9f3ade404240ef2a, 1

	.ident	"AMD clang version 19.0.0git (https://github.com/RadeonOpenCompute/llvm-project roc-6.4.0 25133 c7fe45cf4b819c5991fe208aaa96edf142730f1d)"
	.section	".note.GNU-stack","",@progbits
	.addrsig
	.addrsig_sym __hip_cuid_9f3ade404240ef2a
	.amdgpu_metadata
---
amdhsa.kernels:
  - .args:
      - .actual_access:  read_only
        .address_space:  global
        .offset:         0
        .size:           8
        .value_kind:     global_buffer
      - .offset:         8
        .size:           8
        .value_kind:     by_value
      - .actual_access:  read_only
        .address_space:  global
        .offset:         16
        .size:           8
        .value_kind:     global_buffer
      - .actual_access:  read_only
        .address_space:  global
        .offset:         24
        .size:           8
        .value_kind:     global_buffer
      - .actual_access:  read_only
        .address_space:  global
        .offset:         32
        .size:           8
        .value_kind:     global_buffer
      - .offset:         40
        .size:           8
        .value_kind:     by_value
      - .actual_access:  read_only
        .address_space:  global
        .offset:         48
        .size:           8
        .value_kind:     global_buffer
      - .actual_access:  read_only
        .address_space:  global
        .offset:         56
        .size:           8
        .value_kind:     global_buffer
      - .offset:         64
        .size:           4
        .value_kind:     by_value
      - .actual_access:  read_only
        .address_space:  global
        .offset:         72
        .size:           8
        .value_kind:     global_buffer
      - .actual_access:  read_only
        .address_space:  global
        .offset:         80
        .size:           8
        .value_kind:     global_buffer
      - .actual_access:  read_only
        .address_space:  global
        .offset:         88
        .size:           8
        .value_kind:     global_buffer
      - .actual_access:  write_only
        .address_space:  global
        .offset:         96
        .size:           8
        .value_kind:     global_buffer
    .group_segment_fixed_size: 0
    .kernarg_segment_align: 8
    .kernarg_segment_size: 104
    .language:       OpenCL C
    .language_version:
      - 2
      - 0
    .max_flat_workgroup_size: 44
    .name:           fft_rtc_back_len924_factors_2_2_3_7_11_wgs_44_tpt_44_halfLds_dp_op_CI_CI_unitstride_sbrr_dirReg
    .private_segment_fixed_size: 0
    .sgpr_count:     41
    .sgpr_spill_count: 0
    .symbol:         fft_rtc_back_len924_factors_2_2_3_7_11_wgs_44_tpt_44_halfLds_dp_op_CI_CI_unitstride_sbrr_dirReg.kd
    .uniform_work_group_size: 1
    .uses_dynamic_stack: false
    .vgpr_count:     246
    .vgpr_spill_count: 0
    .wavefront_size: 32
    .workgroup_processor_mode: 1
amdhsa.target:   amdgcn-amd-amdhsa--gfx1201
amdhsa.version:
  - 1
  - 2
...

	.end_amdgpu_metadata
